;; amdgpu-corpus repo=ROCm/rccl kind=compiled arch=gfx1250 opt=O3
	.amdgcn_target "amdgcn-amd-amdhsa--gfx1250"
	.amdhsa_code_object_version 6
	.text
	.p2align	2                               ; -- Begin function _ZN12_GLOBAL__N_17runRingId8FuncProdIdE7ProtoLLLi0ELi1ELi0EEEviiP15ncclDevWorkColl
	.type	_ZN12_GLOBAL__N_17runRingId8FuncProdIdE7ProtoLLLi0ELi1ELi0EEEviiP15ncclDevWorkColl,@function
_ZN12_GLOBAL__N_17runRingId8FuncProdIdE7ProtoLLLi0ELi1ELi0EEEviiP15ncclDevWorkColl: ; @_ZN12_GLOBAL__N_17runRingId8FuncProdIdE7ProtoLLLi0ELi1ELi0EEEviiP15ncclDevWorkColl
; %bb.0:
	s_wait_loadcnt_dscnt 0x0
	s_wait_kmcnt 0x0
	s_clause 0x11
	scratch_store_b32 off, v40, s32 offset:68
	; meta instruction
	scratch_store_b32 off, v41, s32 offset:64
	; meta instruction
	;; [unrolled: 2-line block ×17, first 2 shown]
	scratch_store_b32 off, v73, s32
	s_trap 2
	s_clause 0x2
	flat_load_b32 v12, v[2:3]
	flat_load_b128 v[4:7], v[2:3] offset:72
	flat_load_b64 v[68:69], v[2:3] offset:88
	v_mov_b32_e32 v22, v1
	ds_load_b32 v8, v0
	ds_load_b64 v[24:25], v0
	s_mov_b32 s0, exec_lo
                                        ; implicit-def: $vgpr16_vgpr17
                                        ; implicit-def: $vgpr26_vgpr27
	s_wait_dscnt 0x1
	v_readfirstlane_b32 s12, v8
	s_wait_loadcnt 0x2
	v_bfe_u32 v9, v12, 8, 8
	v_bitop3_b32 v1, v12, 0xff, v12 bitop3:0x3f
	s_delay_alu instid0(VALU_DEP_1) | instskip(NEXT) | instid1(VALU_DEP_1)
	v_add_nc_u32_e32 v10, v9, v1
	v_ashrrev_i32_e32 v11, 31, v10
	s_wait_loadcnt 0x1
	s_delay_alu instid0(VALU_DEP_1) | instskip(SKIP_2) | instid1(VALU_DEP_1)
	v_mul_u64_e32 v[18:19], v[6:7], v[10:11]
	v_and_b32_e32 v10, 0xff, v12
	s_wait_xcnt 0x0
	v_cmpx_ne_u32_e64 v8, v10
	s_xor_b32 s0, exec_lo, s0
	s_cbranch_execz .LBB0_6
; %bb.1:
	s_mov_b32 s1, exec_lo
                                        ; implicit-def: $vgpr16_vgpr17
                                        ; implicit-def: $vgpr26_vgpr27
	v_cmpx_ne_u32_e64 v8, v9
	s_xor_b32 s1, exec_lo, s1
	s_cbranch_execz .LBB0_3
; %bb.2:
	flat_load_b64 v[10:11], v[2:3] offset:96
	v_add_nc_u32_e32 v1, v8, v1
	s_delay_alu instid0(VALU_DEP_1) | instskip(NEXT) | instid1(VALU_DEP_1)
	v_mad_nc_u64_u32 v[26:27], v6, v1, v[4:5]
	v_mad_u32 v8, v7, v1, v27
	v_ashrrev_i32_e32 v1, 31, v1
	s_delay_alu instid0(VALU_DEP_1)
	v_mad_u32 v27, v6, v1, v8
	s_wait_loadcnt_dscnt 0x0
	v_lshrrev_b64 v[16:17], 20, v[10:11]
.LBB0_3:
	s_wait_xcnt 0x0
	s_and_not1_saveexec_b32 s1, s1
	s_cbranch_execz .LBB0_5
; %bb.4:
	flat_load_b32 v1, v[2:3] offset:100
	v_add_nc_u64_e32 v[26:27], v[18:19], v[4:5]
	s_wait_loadcnt 0x1
	v_mov_b64_e32 v[6:7], v[68:69]
	s_wait_loadcnt_dscnt 0x0
	v_lshrrev_b32_e32 v16, 9, v1
.LBB0_5:
	s_wait_xcnt 0x0
	s_or_b32 exec_lo, exec_lo, s1
.LBB0_6:
	s_and_not1_saveexec_b32 s0, s0
	s_cbranch_execz .LBB0_8
; %bb.7:
	flat_load_b64 v[6:7], v[2:3] offset:96
	v_mov_b64_e32 v[26:27], 0
	s_wait_loadcnt_dscnt 0x0
	v_lshlrev_b64_e32 v[16:17], 1, v[6:7]
	v_mov_b64_e32 v[6:7], v[4:5]
.LBB0_8:
	s_wait_xcnt 0x0
	s_or_b32 exec_lo, exec_lo, s0
	s_load_b32 s0, s[8:9], 0x0
	s_clause 0x1
	flat_load_u16 v13, v[2:3] offset:8
	flat_load_b32 v12, v[2:3] offset:4
	s_bfe_u32 s1, ttmp6, 0x4000c
	s_and_b32 s2, ttmp6, 15
	s_add_co_i32 s1, s1, 1
	s_getreg_b32 s3, hwreg(HW_REG_IB_STS2, 6, 4)
	s_mul_i32 s1, ttmp9, s1
	v_mov_b32_e32 v1, 0
	s_add_co_i32 s2, s2, s1
	s_cmp_eq_u32 s3, 0
	s_mov_b32 s1, 0
	s_cselect_b32 s2, ttmp9, s2
	v_mov_b64_e32 v[28:29], 0
	s_wait_kmcnt 0x0
	s_cmp_lt_u32 s2, s0
	s_cselect_b32 s0, 12, 18
	s_delay_alu instid0(SALU_CYCLE_1)
	s_add_nc_u64 s[2:3], s[8:9], s[0:1]
	flat_load_b128 v[8:11], v[2:3] offset:16
	global_load_u16 v17, v1, s[2:3]
	s_wait_xcnt 0x0
	v_ashrrev_i32_e32 v1, 31, v0
	s_trap 2
	ds_load_b32 v2, v0
	v_lshrrev_b32_e32 v3, 27, v1
	s_delay_alu instid0(VALU_DEP_1) | instskip(NEXT) | instid1(VALU_DEP_1)
	v_add_nc_u32_e32 v3, v0, v3
	v_and_b32_e32 v3, 0xffffffe0, v3
	s_wait_dscnt 0x0
	v_cmp_gt_i32_e32 vcc_lo, 0, v2
	v_readfirstlane_b32 s2, v2
	s_and_b32 vcc_lo, exec_lo, vcc_lo
	s_wait_loadcnt 0x2
	v_lshrrev_b64 v[14:15], 31, v[12:13]
	v_sub_nc_u32_e32 v12, v0, v3
	s_delay_alu instid0(VALU_DEP_1) | instskip(NEXT) | instid1(VALU_DEP_3)
	v_cmp_eq_u32_e64 s0, 0, v12
	v_and_b32_e32 v3, 3, v14
	s_delay_alu instid0(VALU_DEP_1)
	v_and_b32_e32 v13, 0xffff, v3
	s_cbranch_vccnz .LBB0_10
; %bb.9:
	s_trap 2
	ds_load_b64 v[14:15], v0
	s_mov_b32 s1, 1
	s_wait_dscnt 0x0
	v_readfirstlane_b32 s4, v14
	v_readfirstlane_b32 s5, v15
	flat_load_b64 v[2:3], v2, s[4:5] scale_offset
	s_wait_loadcnt_dscnt 0x0
	v_mad_nc_u64_u32 v[2:3], 0xa8, v13, v[2:3]
	s_clause 0x1
	flat_load_b64 v[34:35], v[2:3] offset:504
	flat_load_b64 v[36:37], v[2:3] offset:608
	v_add_nc_u64_e32 v[32:33], 0x1f8, v[2:3]
	s_wait_xcnt 0x0
	s_delay_alu instid0(VALU_DEP_1)
	v_dual_cndmask_b32 v3, 0, v33, s0 :: v_dual_cndmask_b32 v2, 0, v32, s0
	s_branch .LBB0_11
.LBB0_10:
	v_mov_b64_e32 v[32:33], 0
	v_mov_b64_e32 v[2:3], 0
                                        ; implicit-def: $vgpr36_vgpr37
                                        ; implicit-def: $vgpr34_vgpr35
.LBB0_11:
	s_trap 2
	ds_load_b32 v14, v0
	s_wait_dscnt 0x0
	v_cmp_gt_i32_e32 vcc_lo, 0, v14
	s_cbranch_vccnz .LBB0_13
; %bb.12:
	s_trap 2
	ds_load_b64 v[20:21], v0
	v_cmp_eq_u32_e32 vcc_lo, 0, v12
	s_wait_dscnt 0x0
	v_readfirstlane_b32 s4, v20
	v_readfirstlane_b32 s5, v21
	flat_load_b64 v[14:15], v14, s[4:5] scale_offset
	s_wait_loadcnt_dscnt 0x0
	v_mad_nc_u64_u32 v[28:29], 0xa8, v13, v[14:15]
	s_clause 0x1
	flat_load_b64 v[38:39], v[28:29]
	flat_load_b64 v[20:21], v[28:29] offset:104
	v_dual_cndmask_b32 v55, 0, v29 :: v_dual_cndmask_b32 v54, 0, v28
	s_branch .LBB0_14
.LBB0_13:
	v_mov_b64_e32 v[54:55], 0
                                        ; implicit-def: $vgpr20_vgpr21
                                        ; implicit-def: $vgpr38_vgpr39
.LBB0_14:
	s_wait_xcnt 0x2
	v_subrev_nc_u32_e32 v14, 32, v22
	v_cmp_gt_i32_e32 vcc_lo, s1, v12
	v_mov_b64_e32 v[12:13], 0
	v_mov_b64_e32 v[50:51], 0
                                        ; implicit-def: $vgpr48_vgpr49
	s_delay_alu instid0(VALU_DEP_4)
	v_cmp_ge_i32_e64 s0, v0, v14
	s_and_b32 s11, s0, vcc_lo
	s_wait_xcnt 0x0
	s_and_saveexec_b32 s0, s11
	s_cbranch_execz .LBB0_16
; %bb.15:
	s_clause 0x1
	flat_load_b64 v[50:51], v[2:3] offset:56
	flat_load_b64 v[48:49], v[2:3] offset:104
.LBB0_16:
	s_wait_xcnt 0x0
	s_or_b32 exec_lo, exec_lo, s0
	v_mov_b64_e32 v[52:53], 0
	v_cmp_gt_i32_e64 s0, s1, v0
                                        ; implicit-def: $vgpr64_vgpr65
	s_and_saveexec_b32 s1, s0
	s_cbranch_execz .LBB0_18
; %bb.17:
	flat_load_b64 v[52:53], v[54:55] offset:56
	s_wait_loadcnt_dscnt 0x0
	flat_load_b64 v[64:65], v[52:53] scope:SCOPE_SYS
	s_wait_loadcnt 0x0
	flat_load_b128 v[12:15], v[54:55] offset:96
.LBB0_18:
	s_wait_xcnt 0x0
	s_or_b32 exec_lo, exec_lo, s1
	v_mov_b64_e32 v[54:55], 0
	s_wait_loadcnt 0x0
	v_and_b32_e32 v30, 0xffff, v17
	s_mov_b32 s14, exec_lo
	v_cmpx_ne_u64_e32 0, v[6:7]
	s_cbranch_execnz .LBB0_34
; %bb.19:
	s_or_b32 exec_lo, exec_lo, s14
	s_and_saveexec_b32 s1, s11
	s_cbranch_execnz .LBB0_202
.LBB0_20:
	s_or_b32 exec_lo, exec_lo, s1
	s_and_saveexec_b32 s1, s0
	s_cbranch_execz .LBB0_22
.LBB0_21:
	s_wait_dscnt 0x0
	flat_store_b64 v[28:29], v[14:15] offset:104
.LBB0_22:
	s_wait_xcnt 0x0
	s_or_b32 exec_lo, exec_lo, s1
	s_delay_alu instid0(SALU_CYCLE_1)
	s_mov_b32 s0, exec_lo
	v_cmpx_ne_u32_e32 32, v22
	s_cbranch_execz .LBB0_209
; %bb.23:
	s_mov_b32 s1, exec_lo
	v_cmpx_ne_u32_e64 v22, v30
	s_xor_b32 s1, exec_lo, s1
	s_cbranch_execz .LBB0_207
; %bb.24:
	v_and_b32_e32 v0, 31, v31
	s_mov_b32 s2, exec_lo
	s_delay_alu instid0(VALU_DEP_1)
	v_cmpx_eq_u32_e32 0, v0
	s_cbranch_execz .LBB0_206
; %bb.25:
	s_mov_b32 s4, exec_lo
	s_mov_b32 s3, exec_lo
	v_mbcnt_lo_u32_b32 v0, s4, 0
	global_wb scope:SCOPE_DEV
	s_wait_storecnt 0x0
	s_wait_loadcnt_dscnt 0x0
	global_inv scope:SCOPE_DEV
	v_cmpx_eq_u32_e32 0, v0
	s_cbranch_execz .LBB0_27
; %bb.26:
	s_bcnt1_i32_b32 s4, s4
	s_delay_alu instid0(SALU_CYCLE_1)
	v_dual_mov_b32 v1, 0 :: v_dual_mov_b32 v0, s4
	s_wait_loadcnt 0x0
	ds_add_u64 v0, v[0:1]
	s_trap 2
.LBB0_27:
	s_or_b32 exec_lo, exec_lo, s3
	s_trap 2
	ds_load_b64 v[2:3], v0
	s_wait_dscnt 0x0
	v_dual_mov_b32 v1, 0 :: v_dual_lshrrev_b32 v0, 5, v22
	s_mov_b32 s3, exec_lo
	s_delay_alu instid0(VALU_DEP_1) | instskip(NEXT) | instid1(VALU_DEP_1)
	v_add_nc_u64_e32 v[0:1], v[54:55], v[0:1]
	v_cmpx_lt_u64_e64 v[2:3], v[0:1]
	s_cbranch_execz .LBB0_205
; %bb.28:
	s_mov_b32 s4, 0
	s_mov_b32 s7, 0
                                        ; implicit-def: $sgpr5
                                        ; implicit-def: $sgpr6
	s_branch .LBB0_30
.LBB0_29:                               ;   in Loop: Header=BB0_30 Depth=1
	s_or_b32 exec_lo, exec_lo, s9
	s_delay_alu instid0(SALU_CYCLE_1) | instskip(NEXT) | instid1(SALU_CYCLE_1)
	s_and_b32 s8, exec_lo, s10
	s_or_b32 s4, s8, s4
	s_and_not1_b32 s5, s5, exec_lo
	s_and_b32 s8, s6, exec_lo
	s_delay_alu instid0(SALU_CYCLE_1)
	s_or_b32 s5, s5, s8
	s_and_not1_b32 exec_lo, exec_lo, s4
	s_cbranch_execz .LBB0_203
.LBB0_30:                               ; =>This Inner Loop Header: Depth=1
	s_add_co_i32 s7, s7, 1
	s_delay_alu instid0(SALU_CYCLE_1) | instskip(SKIP_1) | instid1(SALU_CYCLE_1)
	s_cmp_lg_u32 s7, 0x2710
	s_cselect_b32 s8, -1, 0
	s_and_b32 vcc_lo, exec_lo, s8
	s_cbranch_vccz .LBB0_32
; %bb.31:                               ;   in Loop: Header=BB0_30 Depth=1
	s_mov_b32 s10, -1
	s_or_b32 s6, s6, exec_lo
	s_and_saveexec_b32 s9, s8
	s_cbranch_execz .LBB0_29
	s_branch .LBB0_33
.LBB0_32:                               ;   in Loop: Header=BB0_30 Depth=1
	s_trap 2
	ds_load_b64 v[2:3], v0
	s_and_not1_b32 s8, s8, exec_lo
	s_mov_b32 s7, 0
	s_wait_loadcnt_dscnt 0x0
	flat_load_b32 v2, v[2:3] scope:SCOPE_SYS
	s_wait_loadcnt_dscnt 0x0
	global_inv scope:SCOPE_SYS
	v_cmp_eq_u32_e32 vcc_lo, 0, v2
	s_and_b32 s9, vcc_lo, exec_lo
	s_delay_alu instid0(SALU_CYCLE_1)
	s_or_b32 s8, s8, s9
	s_mov_b32 s10, -1
	s_or_b32 s6, s6, exec_lo
	s_and_saveexec_b32 s9, s8
	s_cbranch_execz .LBB0_29
.LBB0_33:                               ;   in Loop: Header=BB0_30 Depth=1
	s_sleep 1
	s_trap 2
	ds_load_b64 v[2:3], v0
	s_wait_dscnt 0x0
	s_and_not1_b32 s6, s6, exec_lo
	v_cmp_ge_u64_e32 vcc_lo, v[2:3], v[0:1]
	s_or_not1_b32 s10, vcc_lo, exec_lo
	s_branch .LBB0_29
.LBB0_34:
	v_add_nc_u64_e32 v[4:5], v[68:69], v[4:5]
	v_dual_mov_b32 v2, 0 :: v_dual_bitop2_b32 v3, 31, v31 bitop3:0x40
	s_ashr_i32 s1, s2, 31
	s_ashr_i32 s13, s12, 31
	s_lshr_b32 s1, s1, 29
	s_delay_alu instid0(VALU_DEP_1) | instskip(NEXT) | instid1(VALU_DEP_3)
	v_dual_mov_b32 v83, v2 :: v_dual_mov_b32 v23, v2
	v_add_nc_u64_e32 v[68:69], v[4:5], v[18:19]
	v_lshlrev_b64_e32 v[4:5], 3, v[0:1]
	v_dual_mov_b32 v19, v2 :: v_dual_bitop2_b32 v18, 7, v8 bitop3:0x40
	s_add_co_i32 s2, s2, s1
	v_cmp_eq_u32_e64 s5, 0, v3
	v_dual_lshlrev_b32 v3, 3, v16 :: v_dual_mov_b32 v97, v2
	s_delay_alu instid0(VALU_DEP_4)
	v_lshl_add_u64 v[54:55], v[26:27], 3, v[4:5]
	s_ashr_i32 s15, s2, 7
	s_lshl_b64 s[2:3], s[12:13], 2
	v_mov_b64_e32 v[80:81], 0
	v_add_nc_u64_e32 v[70:71], s[2:3], v[24:25]
	v_cmp_ne_u64_e64 s1, 0, v[52:53]
	s_wait_dscnt 0x0
	v_cmp_ne_u64_e64 s2, 0, v[12:13]
	v_add_nc_u64_e32 v[84:85], v[10:11], v[4:5]
	v_cmp_ne_u64_e64 s6, 0, v[50:51]
	v_add_nc_u64_e32 v[8:9], v[8:9], v[4:5]
	v_cmp_eq_u64_e64 s7, 0, v[18:19]
	v_add_nc_u64_e32 v[86:87], v[10:11], v[54:55]
	v_lshlrev_b64_e32 v[98:99], 3, v[68:69]
	v_lshlrev_b64_e32 v[100:101], 3, v[22:23]
	;; [unrolled: 1-line block ×3, first 2 shown]
	v_mov_b64_e32 v[54:55], 0
	v_and_b32_e32 v66, 0x3ffffe, v16
	v_dual_mov_b32 v67, v2 :: v_dual_lshrrev_b32 v82, 5, v22
	v_cmp_ne_u32_e64 s3, 32, v22
	v_cmp_ne_u32_e64 s4, v22, v30
	v_and_b32_e32 v96, 0x1fffff0, v3
	v_dual_mov_b32 v60, 1 :: v_dual_mov_b32 v61, 0
	v_lshl_add_u64 v[112:113], v[0:1], 4, v[38:39]
	s_cmp_gt_i32 s12, 2
	s_mov_b32 s13, 0
	s_cselect_b32 s16, -1, 0
	s_branch .LBB0_36
.LBB0_35:                               ;   in Loop: Header=BB0_36 Depth=1
	s_wait_xcnt 0x0
	s_or_b32 exec_lo, exec_lo, s8
	v_add_nc_u64_e32 v[80:81], v[80:81], v[66:67]
	v_add_nc_u64_e32 v[36:37], 1, v[36:37]
	;; [unrolled: 1-line block ×3, first 2 shown]
	s_delay_alu instid0(VALU_DEP_3) | instskip(SKIP_1) | instid1(SALU_CYCLE_1)
	v_cmp_ge_u64_e32 vcc_lo, v[80:81], v[6:7]
	s_or_b32 s13, vcc_lo, s13
	s_and_not1_b32 exec_lo, exec_lo, s13
	s_cbranch_execz .LBB0_201
.LBB0_36:                               ; =>This Loop Header: Depth=1
                                        ;     Child Loop BB0_41 Depth 2
                                        ;     Child Loop BB0_60 Depth 2
	;; [unrolled: 1-line block ×5, first 2 shown]
                                        ;       Child Loop BB0_86 Depth 3
                                        ;       Child Loop BB0_105 Depth 3
	;; [unrolled: 1-line block ×3, first 2 shown]
                                        ;         Child Loop BB0_132 Depth 4
                                        ;       Child Loop BB0_147 Depth 3
                                        ;       Child Loop BB0_122 Depth 3
                                        ;     Child Loop BB0_163 Depth 2
                                        ;       Child Loop BB0_168 Depth 3
                                        ;     Child Loop BB0_189 Depth 2
	s_wait_loadcnt_dscnt 0x0
	flat_load_b32 v3, v[70:71] offset:-4
	v_sub_nc_u64_e32 v[4:5], v[6:7], v[80:81]
	s_delay_alu instid0(VALU_DEP_1)
	v_min_u64 v[114:115], v[66:67], v[4:5]
	s_wait_xcnt 0x0
	s_and_saveexec_b32 s9, s1
	s_cbranch_execz .LBB0_52
; %bb.37:                               ;   in Loop: Header=BB0_36 Depth=1
	v_add_nc_u64_e32 v[4:5], 1, v[14:15]
	v_add_nc_u64_e32 v[16:17], 8, v[64:65]
	s_mov_b32 s10, exec_lo
	s_delay_alu instid0(VALU_DEP_1)
	v_cmpx_lt_u64_e64 v[16:17], v[4:5]
	s_cbranch_execz .LBB0_49
; %bb.38:                               ;   in Loop: Header=BB0_36 Depth=1
	s_mov_b32 s17, 0
	s_mov_b32 s21, 0
	v_cmp_eq_u32_e32 vcc_lo, 0, v61
                                        ; implicit-def: $sgpr18
                                        ; implicit-def: $sgpr19
                                        ; implicit-def: $sgpr20
	s_branch .LBB0_41
.LBB0_39:                               ;   in Loop: Header=BB0_41 Depth=2
	s_or_b32 exec_lo, exec_lo, s26
	v_mov_b32_e32 v16, 0
	s_and_not1_b32 s8, s20, exec_lo
	s_and_b32 s20, s24, exec_lo
	s_and_not1_b32 s19, s19, exec_lo
	s_and_b32 s23, s23, exec_lo
	s_or_b32 s20, s8, s20
	s_or_b32 s19, s19, s23
.LBB0_40:                               ;   in Loop: Header=BB0_41 Depth=2
	s_or_b32 exec_lo, exec_lo, s22
	s_delay_alu instid0(SALU_CYCLE_1) | instskip(NEXT) | instid1(SALU_CYCLE_1)
	s_and_b32 s8, exec_lo, s19
	s_or_b32 s17, s8, s17
	s_and_not1_b32 s8, s18, exec_lo
	s_and_b32 s18, s20, exec_lo
	s_delay_alu instid0(SALU_CYCLE_1)
	s_or_b32 s18, s8, s18
	s_and_not1_b32 exec_lo, exec_lo, s17
	s_cbranch_execz .LBB0_46
.LBB0_41:                               ;   Parent Loop BB0_36 Depth=1
                                        ; =>  This Inner Loop Header: Depth=2
	s_sleep 1
	s_wait_loadcnt_dscnt 0x0
	flat_load_b64 v[64:65], v[52:53] scope:SCOPE_DEV
	v_mov_b32_e32 v16, v61
	s_or_b32 s20, s20, exec_lo
	s_or_b32 s19, s19, exec_lo
                                        ; implicit-def: $vgpr15
	s_wait_xcnt 0x0
	s_and_saveexec_b32 s22, vcc_lo
	s_cbranch_execz .LBB0_40
; %bb.42:                               ;   in Loop: Header=BB0_41 Depth=2
	s_add_co_i32 s21, s21, 1
	s_mov_b32 s23, -1
	s_cmp_lg_u32 s21, 0x2710
	s_mov_b32 s24, -1
	s_cselect_b32 s25, -1, 0
	s_cmp_eq_u32 s21, 0x2710
                                        ; implicit-def: $vgpr15
	s_cbranch_scc1 .LBB0_44
; %bb.43:                               ;   in Loop: Header=BB0_41 Depth=2
	s_and_saveexec_b32 s26, s25
	s_cbranch_execz .LBB0_39
	s_branch .LBB0_45
.LBB0_44:                               ;   in Loop: Header=BB0_41 Depth=2
	s_trap 2
	ds_load_b64 v[16:17], v0
	s_and_not1_b32 s21, s25, exec_lo
	s_mov_b32 s24, 0
	s_wait_storecnt 0x0
	s_wait_loadcnt_dscnt 0x0
	flat_load_b32 v15, v[16:17] scope:SCOPE_SYS
	s_wait_loadcnt_dscnt 0x0
	global_inv scope:SCOPE_SYS
	v_cmp_eq_u32_e64 s8, 0, v15
	s_and_b32 s8, s8, exec_lo
	s_delay_alu instid0(SALU_CYCLE_1)
	s_or_b32 s25, s21, s8
	s_mov_b32 s21, 0
	s_wait_xcnt 0x0
	s_and_saveexec_b32 s26, s25
	s_cbranch_execz .LBB0_39
.LBB0_45:                               ;   in Loop: Header=BB0_41 Depth=2
	s_wait_loadcnt_dscnt 0x0
	v_add_nc_u64_e32 v[16:17], 8, v[64:65]
	s_or_b32 s24, s24, exec_lo
	s_delay_alu instid0(VALU_DEP_1)
	v_cmp_ge_u64_e64 s8, v[16:17], v[4:5]
	s_or_not1_b32 s23, s8, exec_lo
	s_branch .LBB0_39
.LBB0_46:                               ;   in Loop: Header=BB0_36 Depth=1
	s_or_b32 exec_lo, exec_lo, s17
	s_xor_b32 s8, s18, -1
	s_delay_alu instid0(SALU_CYCLE_1) | instskip(NEXT) | instid1(SALU_CYCLE_1)
	s_and_saveexec_b32 s17, s8
	s_xor_b32 s8, exec_lo, s17
	s_cbranch_execz .LBB0_48
; %bb.47:                               ;   in Loop: Header=BB0_36 Depth=1
	v_mov_b32_e32 v16, 1
	s_wait_storecnt 0x0
	s_wait_loadcnt_dscnt 0x0
	ds_store_b32 v0, v15
	s_trap 2
.LBB0_48:                               ;   in Loop: Header=BB0_36 Depth=1
	s_or_b32 exec_lo, exec_lo, s8
	v_mov_b32_e32 v61, v16
.LBB0_49:                               ;   in Loop: Header=BB0_36 Depth=1
	s_or_b32 exec_lo, exec_lo, s10
	s_and_saveexec_b32 s8, s2
	s_cbranch_execz .LBB0_51
; %bb.50:                               ;   in Loop: Header=BB0_36 Depth=1
	v_and_b32_e32 v16, 0x7ffffff8, v14
	v_dual_mov_b32 v17, v2 :: v_dual_bitop2_b32 v14, 7, v14 bitop3:0x40
	s_delay_alu instid0(VALU_DEP_1) | instskip(NEXT) | instid1(VALU_DEP_2)
	v_cmp_eq_u64_e32 vcc_lo, 0x7ffffff8, v[16:17]
	v_mad_nc_u64_u32 v[14:15], v14, 24, v[12:13]
	v_cndmask_b32_e64 v16, v114, s15, vcc_lo
	s_delay_alu instid0(VALU_DEP_1) | instskip(NEXT) | instid1(VALU_DEP_1)
	v_lshlrev_b32_e32 v16, 4, v16
	v_ashrrev_i32_e32 v17, 31, v16
	flat_store_b64 v[14:15], v[16:17] offset:8 scope:SCOPE_SYS
	s_wait_storecnt 0x0
.LBB0_51:                               ;   in Loop: Header=BB0_36 Depth=1
	s_wait_xcnt 0x0
	s_or_b32 exec_lo, exec_lo, s8
	v_mov_b64_e32 v[14:15], v[4:5]
.LBB0_52:                               ;   in Loop: Header=BB0_36 Depth=1
	s_or_b32 exec_lo, exec_lo, s9
	s_and_saveexec_b32 s8, s3
	s_cbranch_execz .LBB0_71
; %bb.53:                               ;   in Loop: Header=BB0_36 Depth=1
	s_and_saveexec_b32 s9, s4
	s_delay_alu instid0(SALU_CYCLE_1)
	s_xor_b32 s9, exec_lo, s9
	s_cbranch_execz .LBB0_68
; %bb.54:                               ;   in Loop: Header=BB0_36 Depth=1
	s_and_saveexec_b32 s10, s5
	s_cbranch_execz .LBB0_67
; %bb.55:                               ;   in Loop: Header=BB0_36 Depth=1
	s_mov_b32 s18, exec_lo
	s_mov_b32 s17, exec_lo
	v_mbcnt_lo_u32_b32 v4, s18, 0
	global_wb scope:SCOPE_DEV
	s_wait_storecnt 0x0
	s_wait_loadcnt_dscnt 0x0
	global_inv scope:SCOPE_DEV
	v_cmpx_eq_u32_e32 0, v4
	s_cbranch_execz .LBB0_57
; %bb.56:                               ;   in Loop: Header=BB0_36 Depth=1
	s_bcnt1_i32_b32 s18, s18
	s_delay_alu instid0(SALU_CYCLE_1)
	v_dual_mov_b32 v5, v2 :: v_dual_mov_b32 v4, s18
	s_wait_loadcnt 0x0
	ds_add_u64 v0, v[4:5]
	s_trap 2
.LBB0_57:                               ;   in Loop: Header=BB0_36 Depth=1
	s_or_b32 exec_lo, exec_lo, s17
	s_trap 2
	ds_load_b64 v[4:5], v0
	s_wait_dscnt 0x0
	v_add_nc_u64_e32 v[54:55], v[54:55], v[82:83]
	s_mov_b32 s17, exec_lo
	s_delay_alu instid0(VALU_DEP_1)
	v_cmpx_lt_u64_e64 v[4:5], v[54:55]
	s_cbranch_execz .LBB0_66
; %bb.58:                               ;   in Loop: Header=BB0_36 Depth=1
	s_mov_b32 s18, 0
	s_mov_b32 s21, 0
                                        ; implicit-def: $sgpr19
                                        ; implicit-def: $sgpr20
	s_branch .LBB0_60
.LBB0_59:                               ;   in Loop: Header=BB0_60 Depth=2
	s_or_b32 exec_lo, exec_lo, s23
	s_delay_alu instid0(SALU_CYCLE_1) | instskip(NEXT) | instid1(SALU_CYCLE_1)
	s_and_b32 s22, exec_lo, s24
	s_or_b32 s18, s22, s18
	s_and_not1_b32 s19, s19, exec_lo
	s_and_b32 s22, s20, exec_lo
	s_delay_alu instid0(SALU_CYCLE_1)
	s_or_b32 s19, s19, s22
	s_and_not1_b32 exec_lo, exec_lo, s18
	s_cbranch_execz .LBB0_64
.LBB0_60:                               ;   Parent Loop BB0_36 Depth=1
                                        ; =>  This Inner Loop Header: Depth=2
	s_add_co_i32 s21, s21, 1
	s_delay_alu instid0(SALU_CYCLE_1) | instskip(SKIP_1) | instid1(SALU_CYCLE_1)
	s_cmp_lg_u32 s21, 0x2710
	s_cselect_b32 s22, -1, 0
	s_and_b32 vcc_lo, exec_lo, s22
	s_cbranch_vccz .LBB0_62
; %bb.61:                               ;   in Loop: Header=BB0_60 Depth=2
	s_mov_b32 s24, -1
	s_or_b32 s20, s20, exec_lo
	s_and_saveexec_b32 s23, s22
	s_cbranch_execz .LBB0_59
	s_branch .LBB0_63
.LBB0_62:                               ;   in Loop: Header=BB0_60 Depth=2
	s_trap 2
	ds_load_b64 v[4:5], v0
	s_and_not1_b32 s22, s22, exec_lo
	s_mov_b32 s21, 0
	s_wait_loadcnt_dscnt 0x0
	flat_load_b32 v4, v[4:5] scope:SCOPE_SYS
	s_wait_loadcnt_dscnt 0x0
	global_inv scope:SCOPE_SYS
	v_cmp_eq_u32_e32 vcc_lo, 0, v4
	s_and_b32 s23, vcc_lo, exec_lo
	s_delay_alu instid0(SALU_CYCLE_1)
	s_or_b32 s22, s22, s23
	s_mov_b32 s24, -1
	s_or_b32 s20, s20, exec_lo
	s_wait_xcnt 0x0
	s_and_saveexec_b32 s23, s22
	s_cbranch_execz .LBB0_59
.LBB0_63:                               ;   in Loop: Header=BB0_60 Depth=2
	s_sleep 1
	s_trap 2
	ds_load_b64 v[4:5], v0
	s_wait_dscnt 0x0
	s_and_not1_b32 s20, s20, exec_lo
	v_cmp_ge_u64_e32 vcc_lo, v[4:5], v[54:55]
	s_or_not1_b32 s24, vcc_lo, exec_lo
	s_branch .LBB0_59
.LBB0_64:                               ;   in Loop: Header=BB0_36 Depth=1
	s_or_b32 exec_lo, exec_lo, s18
	s_and_saveexec_b32 s18, s19
	s_delay_alu instid0(SALU_CYCLE_1)
	s_xor_b32 s18, exec_lo, s18
	s_cbranch_execz .LBB0_66
; %bb.65:                               ;   in Loop: Header=BB0_36 Depth=1
	ds_store_b32 v0, v60
	s_trap 2
.LBB0_66:                               ;   in Loop: Header=BB0_36 Depth=1
	s_or_b32 exec_lo, exec_lo, s17
	;;#ASMSTART
	s_wakeup
	;;#ASMEND
.LBB0_67:                               ;   in Loop: Header=BB0_36 Depth=1
	s_or_b32 exec_lo, exec_lo, s10
.LBB0_68:                               ;   in Loop: Header=BB0_36 Depth=1
	s_and_not1_saveexec_b32 s9, s9
	s_cbranch_execz .LBB0_70
; %bb.69:                               ;   in Loop: Header=BB0_36 Depth=1
	global_wb scope:SCOPE_DEV
	s_wait_storecnt 0x0
	s_wait_loadcnt_dscnt 0x0
	global_inv scope:SCOPE_DEV
	s_barrier_signal -1
	s_barrier_wait -1
.LBB0_70:                               ;   in Loop: Header=BB0_36 Depth=1
	s_or_b32 exec_lo, exec_lo, s9
.LBB0_71:                               ;   in Loop: Header=BB0_36 Depth=1
	s_delay_alu instid0(SALU_CYCLE_1) | instskip(NEXT) | instid1(VALU_DEP_1)
	s_or_b32 exec_lo, exec_lo, s8
	v_dual_sub_nc_u32 v62, v114, v0 :: v_dual_mov_b32 v116, v0
	v_dual_add_nc_u32 v17, 1, v20 :: v_dual_bitop2_b32 v115, 7, v20 bitop3:0x40
	s_delay_alu instid0(VALU_DEP_2)
	v_cmp_lt_i32_e64 s8, 0, v62
	s_and_saveexec_b32 s9, s8
	s_cbranch_execz .LBB0_75
; %bb.72:                               ;   in Loop: Header=BB0_36 Depth=1
	s_wait_loadcnt_dscnt 0x0
	v_mad_nc_u64_u32 v[4:5], v98, v3, v[86:87]
	v_mul_lo_u32 v18, v115, s15
	s_mov_b32 s10, 0
	v_mov_b32_e32 v116, v0
	s_delay_alu instid0(VALU_DEP_3) | instskip(NEXT) | instid1(VALU_DEP_3)
	v_mad_u32 v5, v99, v3, v5
	v_dual_ashrrev_i32 v3, 31, v3 :: v_dual_ashrrev_i32 v19, 31, v18
	s_delay_alu instid0(VALU_DEP_1) | instskip(NEXT) | instid1(VALU_DEP_2)
	v_lshl_add_u64 v[118:119], v[18:19], 4, v[112:113]
	v_mad_u32 v5, v98, v3, v5
	v_mov_b32_e32 v3, v62
.LBB0_73:                               ;   Parent Loop BB0_36 Depth=1
                                        ; =>  This Inner Loop Header: Depth=2
	global_load_b64 v[40:41], v[4:5], off th:TH_LOAD_NT
	v_dual_mov_b32 v19, v17 :: v_dual_sub_nc_u32 v3, v3, v22
	s_wait_xcnt 0x0
	v_add_nc_u64_e32 v[4:5], v[4:5], v[100:101]
	v_add_nc_u32_e32 v116, v116, v22
	s_delay_alu instid0(VALU_DEP_3)
	v_cmp_gt_i32_e32 vcc_lo, 1, v3
	s_or_b32 s10, vcc_lo, s10
	s_wait_loadcnt 0x0
	v_dual_mov_b32 v16, v40 :: v_dual_mov_b32 v18, v41
	global_store_b128 v[118:119], v[16:19], off
	s_wait_xcnt 0x0
	v_add_nc_u64_e32 v[118:119], v[118:119], v[102:103]
	s_and_not1_b32 exec_lo, exec_lo, s10
	s_cbranch_execnz .LBB0_73
; %bb.74:                               ;   in Loop: Header=BB0_36 Depth=1
	s_or_b32 exec_lo, exec_lo, s10
.LBB0_75:                               ;   in Loop: Header=BB0_36 Depth=1
	s_delay_alu instid0(SALU_CYCLE_1) | instskip(SKIP_3) | instid1(VALU_DEP_2)
	s_or_b32 exec_lo, exec_lo, s9
	v_and_b32_e32 v4, 0x7ffffff8, v20
	v_mov_b32_e32 v5, v2
	v_cmp_gt_i32_e64 s9, s15, v116
	v_cmp_eq_u64_e32 vcc_lo, 0x7ffffff8, v[4:5]
	s_and_b32 s10, vcc_lo, s9
	s_delay_alu instid0(SALU_CYCLE_1)
	s_and_saveexec_b32 s9, s10
	s_cbranch_execz .LBB0_78
; %bb.76:                               ;   in Loop: Header=BB0_36 Depth=1
	v_mul_lo_u32 v4, v115, s15
	v_ashrrev_i32_e32 v117, 31, v116
	s_mov_b32 s10, 0
	s_wait_loadcnt_dscnt 0x0
	s_delay_alu instid0(VALU_DEP_2) | instskip(NEXT) | instid1(VALU_DEP_1)
	v_dual_mov_b32 v3, v17 :: v_dual_ashrrev_i32 v5, 31, v4
	v_lshlrev_b64_e32 v[4:5], 4, v[4:5]
	s_delay_alu instid0(VALU_DEP_1) | instskip(NEXT) | instid1(VALU_DEP_1)
	v_lshl_add_u64 v[4:5], v[116:117], 4, v[4:5]
	v_add_nc_u64_e32 v[18:19], v[38:39], v[4:5]
.LBB0_77:                               ;   Parent Loop BB0_36 Depth=1
                                        ; =>  This Inner Loop Header: Depth=2
	v_dual_mov_b32 v4, v2 :: v_dual_add_nc_u32 v116, v116, v22
	v_mov_b32_e32 v5, v3
	s_delay_alu instid0(VALU_DEP_2) | instskip(SKIP_4) | instid1(SALU_CYCLE_1)
	v_cmp_le_i32_e32 vcc_lo, s15, v116
	global_store_b128 v[18:19], v[2:5], off
	s_wait_xcnt 0x0
	v_add_nc_u64_e32 v[18:19], v[18:19], v[102:103]
	s_or_b32 s10, vcc_lo, s10
	s_and_not1_b32 exec_lo, exec_lo, s10
	s_cbranch_execnz .LBB0_77
.LBB0_78:                               ;   in Loop: Header=BB0_36 Depth=1
	s_or_b32 exec_lo, exec_lo, s9
	v_add_nc_u64_e32 v[116:117], v[80:81], v[26:27]
	v_add_nc_u64_e32 v[118:119], 1, v[20:21]
	s_and_not1_b32 vcc_lo, exec_lo, s16
	s_cbranch_vccnz .LBB0_158
; %bb.79:                               ;   in Loop: Header=BB0_36 Depth=1
	s_delay_alu instid0(VALU_DEP_2)
	v_lshl_add_u64 v[40:41], v[116:117], 3, v[84:85]
	v_add_nc_u16 v115, v20, 1
	s_mov_b32 s17, 2
	s_branch .LBB0_81
.LBB0_80:                               ;   in Loop: Header=BB0_81 Depth=2
	s_or_b32 exec_lo, exec_lo, s9
	v_add_nc_u64_e32 v[36:37], 1, v[36:37]
	v_add_nc_u64_e32 v[118:119], 1, v[118:119]
	v_add_nc_u16 v115, v115, 1
	s_add_co_i32 s17, s17, 1
	s_delay_alu instid0(SALU_CYCLE_1)
	s_cmp_eq_u32 s17, s12
	s_cbranch_scc1 .LBB0_158
.LBB0_81:                               ;   Parent Loop BB0_36 Depth=1
                                        ; =>  This Loop Header: Depth=2
                                        ;       Child Loop BB0_86 Depth 3
                                        ;       Child Loop BB0_105 Depth 3
	;; [unrolled: 1-line block ×3, first 2 shown]
                                        ;         Child Loop BB0_132 Depth 4
                                        ;       Child Loop BB0_147 Depth 3
                                        ;       Child Loop BB0_122 Depth 3
	s_sub_co_i32 s9, s12, s17
	v_readfirstlane_b32 s18, v24
	s_wait_loadcnt_dscnt 0x0
	v_mov_b32_e32 v3, s9
	v_readfirstlane_b32 s19, v25
	flat_load_b32 v4, v3, s[18:19] scale_offset
	s_wait_xcnt 0x0
	s_and_saveexec_b32 s10, s1
	s_cbranch_execz .LBB0_97
; %bb.82:                               ;   in Loop: Header=BB0_81 Depth=2
	v_add_nc_u64_e32 v[16:17], 1, v[14:15]
	v_add_nc_u64_e32 v[18:19], 8, v[64:65]
	s_mov_b32 s18, exec_lo
	s_delay_alu instid0(VALU_DEP_1)
	v_cmpx_lt_u64_e64 v[18:19], v[16:17]
	s_cbranch_execz .LBB0_94
; %bb.83:                               ;   in Loop: Header=BB0_81 Depth=2
	s_mov_b32 s19, 0
	s_mov_b32 s23, 0
	v_cmp_eq_u32_e32 vcc_lo, 0, v61
                                        ; implicit-def: $sgpr20
                                        ; implicit-def: $sgpr21
                                        ; implicit-def: $sgpr22
	s_branch .LBB0_86
.LBB0_84:                               ;   in Loop: Header=BB0_86 Depth=3
	s_or_b32 exec_lo, exec_lo, s28
	v_mov_b32_e32 v5, 0
	s_and_not1_b32 s9, s22, exec_lo
	s_and_b32 s22, s26, exec_lo
	s_and_not1_b32 s21, s21, exec_lo
	s_and_b32 s25, s25, exec_lo
	s_or_b32 s22, s9, s22
	s_or_b32 s21, s21, s25
.LBB0_85:                               ;   in Loop: Header=BB0_86 Depth=3
	s_or_b32 exec_lo, exec_lo, s24
	s_delay_alu instid0(SALU_CYCLE_1) | instskip(NEXT) | instid1(SALU_CYCLE_1)
	s_and_b32 s9, exec_lo, s21
	s_or_b32 s19, s9, s19
	s_and_not1_b32 s9, s20, exec_lo
	s_and_b32 s20, s22, exec_lo
	s_delay_alu instid0(SALU_CYCLE_1)
	s_or_b32 s20, s9, s20
	s_and_not1_b32 exec_lo, exec_lo, s19
	s_cbranch_execz .LBB0_91
.LBB0_86:                               ;   Parent Loop BB0_36 Depth=1
                                        ;     Parent Loop BB0_81 Depth=2
                                        ; =>    This Inner Loop Header: Depth=3
	s_sleep 1
	s_wait_loadcnt_dscnt 0x0
	flat_load_b64 v[64:65], v[52:53] scope:SCOPE_DEV
	v_mov_b32_e32 v5, v61
	s_or_b32 s22, s22, exec_lo
	s_or_b32 s21, s21, exec_lo
                                        ; implicit-def: $vgpr3
	s_wait_xcnt 0x0
	s_and_saveexec_b32 s24, vcc_lo
	s_cbranch_execz .LBB0_85
; %bb.87:                               ;   in Loop: Header=BB0_86 Depth=3
	s_add_co_i32 s23, s23, 1
	s_mov_b32 s25, -1
	s_cmp_lg_u32 s23, 0x2710
	s_mov_b32 s26, -1
	s_cselect_b32 s27, -1, 0
	s_cmp_eq_u32 s23, 0x2710
                                        ; implicit-def: $vgpr3
	s_cbranch_scc1 .LBB0_89
; %bb.88:                               ;   in Loop: Header=BB0_86 Depth=3
	s_and_saveexec_b32 s28, s27
	s_cbranch_execz .LBB0_84
	s_branch .LBB0_90
.LBB0_89:                               ;   in Loop: Header=BB0_86 Depth=3
	s_trap 2
	ds_load_b64 v[18:19], v0
	s_and_not1_b32 s23, s27, exec_lo
	s_mov_b32 s26, 0
	s_wait_storecnt 0x0
	s_wait_loadcnt_dscnt 0x0
	flat_load_b32 v3, v[18:19] scope:SCOPE_SYS
	s_wait_loadcnt_dscnt 0x0
	global_inv scope:SCOPE_SYS
	v_cmp_eq_u32_e64 s9, 0, v3
	s_and_b32 s9, s9, exec_lo
	s_delay_alu instid0(SALU_CYCLE_1)
	s_or_b32 s27, s23, s9
	s_mov_b32 s23, 0
	s_and_saveexec_b32 s28, s27
	s_cbranch_execz .LBB0_84
.LBB0_90:                               ;   in Loop: Header=BB0_86 Depth=3
	s_wait_loadcnt_dscnt 0x0
	v_add_nc_u64_e32 v[18:19], 8, v[64:65]
	s_or_b32 s26, s26, exec_lo
	s_delay_alu instid0(VALU_DEP_1)
	v_cmp_ge_u64_e64 s9, v[18:19], v[16:17]
	s_or_not1_b32 s25, s9, exec_lo
	s_branch .LBB0_84
.LBB0_91:                               ;   in Loop: Header=BB0_81 Depth=2
	s_or_b32 exec_lo, exec_lo, s19
	s_xor_b32 s9, s20, -1
	s_delay_alu instid0(SALU_CYCLE_1) | instskip(NEXT) | instid1(SALU_CYCLE_1)
	s_and_saveexec_b32 s19, s9
	s_xor_b32 s9, exec_lo, s19
	s_cbranch_execz .LBB0_93
; %bb.92:                               ;   in Loop: Header=BB0_81 Depth=2
	v_mov_b32_e32 v5, 1
	s_wait_storecnt 0x0
	s_wait_loadcnt_dscnt 0x0
	ds_store_b32 v0, v3
	s_trap 2
.LBB0_93:                               ;   in Loop: Header=BB0_81 Depth=2
	s_or_b32 exec_lo, exec_lo, s9
	v_mov_b32_e32 v61, v5
.LBB0_94:                               ;   in Loop: Header=BB0_81 Depth=2
	s_or_b32 exec_lo, exec_lo, s18
	s_and_saveexec_b32 s9, s2
	s_cbranch_execz .LBB0_96
; %bb.95:                               ;   in Loop: Header=BB0_81 Depth=2
	v_and_b32_e32 v18, 0x7ffffff8, v14
	v_dual_mov_b32 v19, v2 :: v_dual_bitop2_b32 v3, 7, v14 bitop3:0x40
	s_delay_alu instid0(VALU_DEP_1) | instskip(NEXT) | instid1(VALU_DEP_2)
	v_cmp_eq_u64_e32 vcc_lo, 0x7ffffff8, v[18:19]
	v_mad_nc_u64_u32 v[14:15], v3, 24, v[12:13]
	v_cndmask_b32_e64 v5, v114, s15, vcc_lo
	s_delay_alu instid0(VALU_DEP_1) | instskip(NEXT) | instid1(VALU_DEP_1)
	v_lshlrev_b32_e32 v18, 4, v5
	v_ashrrev_i32_e32 v19, 31, v18
	flat_store_b64 v[14:15], v[18:19] offset:8 scope:SCOPE_SYS
	s_wait_storecnt 0x0
.LBB0_96:                               ;   in Loop: Header=BB0_81 Depth=2
	s_wait_xcnt 0x0
	s_or_b32 exec_lo, exec_lo, s9
	v_mov_b64_e32 v[14:15], v[16:17]
.LBB0_97:                               ;   in Loop: Header=BB0_81 Depth=2
	s_or_b32 exec_lo, exec_lo, s10
	s_and_saveexec_b32 s9, s3
	s_cbranch_execz .LBB0_116
; %bb.98:                               ;   in Loop: Header=BB0_81 Depth=2
	s_and_saveexec_b32 s10, s4
	s_delay_alu instid0(SALU_CYCLE_1)
	s_xor_b32 s10, exec_lo, s10
	s_cbranch_execz .LBB0_113
; %bb.99:                               ;   in Loop: Header=BB0_81 Depth=2
	s_and_saveexec_b32 s18, s5
	s_cbranch_execz .LBB0_112
; %bb.100:                              ;   in Loop: Header=BB0_81 Depth=2
	s_mov_b32 s20, exec_lo
	s_mov_b32 s19, exec_lo
	v_mbcnt_lo_u32_b32 v3, s20, 0
	global_wb scope:SCOPE_DEV
	s_wait_storecnt 0x0
	s_wait_loadcnt_dscnt 0x0
	global_inv scope:SCOPE_DEV
	v_cmpx_eq_u32_e32 0, v3
	s_cbranch_execz .LBB0_102
; %bb.101:                              ;   in Loop: Header=BB0_81 Depth=2
	s_bcnt1_i32_b32 s20, s20
	s_delay_alu instid0(SALU_CYCLE_1)
	v_dual_mov_b32 v17, v2 :: v_dual_mov_b32 v16, s20
	s_wait_loadcnt 0x0
	ds_add_u64 v0, v[16:17]
	s_trap 2
.LBB0_102:                              ;   in Loop: Header=BB0_81 Depth=2
	s_or_b32 exec_lo, exec_lo, s19
	s_trap 2
	ds_load_b64 v[16:17], v0
	s_wait_dscnt 0x0
	v_add_nc_u64_e32 v[54:55], v[54:55], v[82:83]
	s_mov_b32 s19, exec_lo
	s_delay_alu instid0(VALU_DEP_1)
	v_cmpx_lt_u64_e64 v[16:17], v[54:55]
	s_cbranch_execz .LBB0_111
; %bb.103:                              ;   in Loop: Header=BB0_81 Depth=2
	s_mov_b32 s20, 0
	s_mov_b32 s23, 0
                                        ; implicit-def: $sgpr21
                                        ; implicit-def: $sgpr22
	s_branch .LBB0_105
.LBB0_104:                              ;   in Loop: Header=BB0_105 Depth=3
	s_or_b32 exec_lo, exec_lo, s25
	s_delay_alu instid0(SALU_CYCLE_1) | instskip(NEXT) | instid1(SALU_CYCLE_1)
	s_and_b32 s24, exec_lo, s26
	s_or_b32 s20, s24, s20
	s_and_not1_b32 s21, s21, exec_lo
	s_and_b32 s24, s22, exec_lo
	s_delay_alu instid0(SALU_CYCLE_1)
	s_or_b32 s21, s21, s24
	s_and_not1_b32 exec_lo, exec_lo, s20
	s_cbranch_execz .LBB0_109
.LBB0_105:                              ;   Parent Loop BB0_36 Depth=1
                                        ;     Parent Loop BB0_81 Depth=2
                                        ; =>    This Inner Loop Header: Depth=3
	s_add_co_i32 s23, s23, 1
	s_delay_alu instid0(SALU_CYCLE_1) | instskip(SKIP_1) | instid1(SALU_CYCLE_1)
	s_cmp_lg_u32 s23, 0x2710
	s_cselect_b32 s24, -1, 0
	s_and_b32 vcc_lo, exec_lo, s24
	s_cbranch_vccz .LBB0_107
; %bb.106:                              ;   in Loop: Header=BB0_105 Depth=3
	s_mov_b32 s26, -1
	s_or_b32 s22, s22, exec_lo
	s_and_saveexec_b32 s25, s24
	s_cbranch_execz .LBB0_104
	s_branch .LBB0_108
.LBB0_107:                              ;   in Loop: Header=BB0_105 Depth=3
	s_trap 2
	ds_load_b64 v[16:17], v0
	s_and_not1_b32 s24, s24, exec_lo
	s_mov_b32 s23, 0
	s_wait_loadcnt_dscnt 0x0
	flat_load_b32 v3, v[16:17] scope:SCOPE_SYS
	s_wait_loadcnt_dscnt 0x0
	global_inv scope:SCOPE_SYS
	v_cmp_eq_u32_e32 vcc_lo, 0, v3
	s_and_b32 s25, vcc_lo, exec_lo
	s_delay_alu instid0(SALU_CYCLE_1)
	s_or_b32 s24, s24, s25
	s_mov_b32 s26, -1
	s_or_b32 s22, s22, exec_lo
	s_wait_xcnt 0x0
	s_and_saveexec_b32 s25, s24
	s_cbranch_execz .LBB0_104
.LBB0_108:                              ;   in Loop: Header=BB0_105 Depth=3
	s_sleep 1
	s_trap 2
	ds_load_b64 v[16:17], v0
	s_wait_dscnt 0x0
	s_and_not1_b32 s22, s22, exec_lo
	v_cmp_ge_u64_e32 vcc_lo, v[16:17], v[54:55]
	s_or_not1_b32 s26, vcc_lo, exec_lo
	s_branch .LBB0_104
.LBB0_109:                              ;   in Loop: Header=BB0_81 Depth=2
	s_or_b32 exec_lo, exec_lo, s20
	s_and_saveexec_b32 s20, s21
	s_delay_alu instid0(SALU_CYCLE_1)
	s_xor_b32 s20, exec_lo, s20
	s_cbranch_execz .LBB0_111
; %bb.110:                              ;   in Loop: Header=BB0_81 Depth=2
	ds_store_b32 v0, v60
	s_trap 2
.LBB0_111:                              ;   in Loop: Header=BB0_81 Depth=2
	s_or_b32 exec_lo, exec_lo, s19
	;;#ASMSTART
	s_wakeup
	;;#ASMEND
.LBB0_112:                              ;   in Loop: Header=BB0_81 Depth=2
	s_or_b32 exec_lo, exec_lo, s18
.LBB0_113:                              ;   in Loop: Header=BB0_81 Depth=2
	s_and_not1_saveexec_b32 s10, s10
	s_cbranch_execz .LBB0_115
; %bb.114:                              ;   in Loop: Header=BB0_81 Depth=2
	global_wb scope:SCOPE_DEV
	s_wait_storecnt 0x0
	s_wait_loadcnt_dscnt 0x0
	global_inv scope:SCOPE_DEV
	s_barrier_signal -1
	s_barrier_wait -1
.LBB0_115:                              ;   in Loop: Header=BB0_81 Depth=2
	s_or_b32 exec_lo, exec_lo, s10
.LBB0_116:                              ;   in Loop: Header=BB0_81 Depth=2
	s_delay_alu instid0(SALU_CYCLE_1)
	s_or_b32 exec_lo, exec_lo, s9
	v_dual_mov_b32 v42, v0 :: v_dual_add_nc_u32 v17, 1, v118
	s_and_saveexec_b32 s18, s8
	s_cbranch_execnz .LBB0_123
; %bb.117:                              ;   in Loop: Header=BB0_81 Depth=2
	s_or_b32 exec_lo, exec_lo, s18
	s_and_saveexec_b32 s9, s3
	s_cbranch_execnz .LBB0_140
.LBB0_118:                              ;   in Loop: Header=BB0_81 Depth=2
	s_or_b32 exec_lo, exec_lo, s9
	s_and_saveexec_b32 s9, s6
	s_cbranch_execz .LBB0_120
.LBB0_119:                              ;   in Loop: Header=BB0_81 Depth=2
	v_add_nc_u64_e32 v[48:49], 1, v[48:49]
	global_wb scope:SCOPE_SYS
	s_wait_storecnt 0x0
	s_wait_loadcnt_dscnt 0x0
	flat_store_b64 v[50:51], v[48:49] scope:SCOPE_SYS
.LBB0_120:                              ;   in Loop: Header=BB0_81 Depth=2
	s_wait_xcnt 0x0
	s_or_b32 exec_lo, exec_lo, s9
	s_wait_loadcnt_dscnt 0x0
	v_and_b32_e32 v4, 0x7ffffff8, v118
	v_mov_b32_e32 v5, v2
	v_cmp_gt_i32_e64 s9, s15, v42
	s_delay_alu instid0(VALU_DEP_2) | instskip(SKIP_1) | instid1(SALU_CYCLE_1)
	v_cmp_eq_u64_e32 vcc_lo, 0x7ffffff8, v[4:5]
	s_and_b32 s10, vcc_lo, s9
	s_and_saveexec_b32 s9, s10
	s_cbranch_execz .LBB0_80
; %bb.121:                              ;   in Loop: Header=BB0_81 Depth=2
	v_dual_ashrrev_i32 v43, 31, v42 :: v_dual_bitop2_b32 v3, 7, v115 bitop3:0x40
	s_mov_b32 s10, 0
	s_delay_alu instid0(VALU_DEP_1) | instskip(NEXT) | instid1(VALU_DEP_1)
	v_mul_lo_u32 v4, s15, v3
	v_dual_mov_b32 v3, v17 :: v_dual_ashrrev_i32 v5, 31, v4
	s_delay_alu instid0(VALU_DEP_1) | instskip(NEXT) | instid1(VALU_DEP_1)
	v_lshlrev_b64_e32 v[4:5], 4, v[4:5]
	v_lshl_add_u64 v[4:5], v[42:43], 4, v[4:5]
	s_delay_alu instid0(VALU_DEP_1)
	v_add_nc_u64_e32 v[18:19], v[38:39], v[4:5]
.LBB0_122:                              ;   Parent Loop BB0_36 Depth=1
                                        ;     Parent Loop BB0_81 Depth=2
                                        ; =>    This Inner Loop Header: Depth=3
	s_delay_alu instid0(VALU_DEP_4)
	v_dual_mov_b32 v4, v2 :: v_dual_mov_b32 v5, v3
	v_add_nc_u32_e32 v42, v42, v22
	global_store_b128 v[18:19], v[2:5], off
	v_cmp_le_i32_e32 vcc_lo, s15, v42
	s_wait_xcnt 0x0
	v_add_nc_u64_e32 v[18:19], v[18:19], v[102:103]
	s_or_b32 s10, vcc_lo, s10
	s_delay_alu instid0(SALU_CYCLE_1)
	s_and_not1_b32 exec_lo, exec_lo, s10
	s_cbranch_execnz .LBB0_122
	s_branch .LBB0_80
.LBB0_123:                              ;   in Loop: Header=BB0_81 Depth=2
	s_wait_loadcnt_dscnt 0x0
	v_dual_mov_b32 v72, v61 :: v_dual_ashrrev_i32 v5, 31, v4
	v_dual_mov_b32 v63, v62 :: v_dual_bitop2_b32 v3, 7, v36 bitop3:0x40
	s_mov_b32 s19, 0
	s_delay_alu instid0(VALU_DEP_2) | instskip(SKIP_1) | instid1(VALU_DEP_3)
	v_mul_u64_e32 v[18:19], v[68:69], v[4:5]
	v_and_b32_e32 v5, 7, v118
	v_mul_lo_u32 v4, v3, s15
	v_dual_mov_b32 v42, v0 :: v_dual_add_nc_u32 v3, 1, v36
	s_delay_alu instid0(VALU_DEP_3) | instskip(NEXT) | instid1(VALU_DEP_3)
	v_mul_lo_u32 v20, v5, s15
	v_ashrrev_i32_e32 v5, 31, v4
	s_delay_alu instid0(VALU_DEP_2) | instskip(NEXT) | instid1(VALU_DEP_2)
	v_ashrrev_i32_e32 v21, 31, v20
	v_lshl_add_u64 v[4:5], v[4:5], 4, v[34:35]
	s_delay_alu instid0(VALU_DEP_2)
	v_lshl_add_u64 v[44:45], v[20:21], 4, v[38:39]
	v_lshl_add_u64 v[46:47], v[18:19], 3, v[40:41]
	s_branch .LBB0_127
.LBB0_124:                              ;   in Loop: Header=BB0_127 Depth=3
	s_or_b32 exec_lo, exec_lo, s9
.LBB0_125:                              ;   in Loop: Header=BB0_127 Depth=3
	s_delay_alu instid0(SALU_CYCLE_1)
	s_or_b32 exec_lo, exec_lo, s21
.LBB0_126:                              ;   in Loop: Header=BB0_127 Depth=3
	s_delay_alu instid0(SALU_CYCLE_1)
	s_or_b32 exec_lo, exec_lo, s20
	s_wait_loadcnt 0x0
	v_dual_mov_b32 v19, v20 :: v_dual_sub_nc_u32 v63, v63, v22
	v_lshl_add_u64 v[46:47], v[22:23], 3, v[46:47]
	v_lshl_add_u64 v[20:21], v[42:43], 4, v[44:45]
	v_add_nc_u32_e32 v42, v42, v22
	s_delay_alu instid0(VALU_DEP_4) | instskip(SKIP_2) | instid1(VALU_DEP_2)
	v_mul_f64_e32 v[18:19], v[56:57], v[18:19]
	v_cmp_gt_i32_e32 vcc_lo, 1, v63
	s_or_b32 s19, vcc_lo, s19
	v_dual_mov_b32 v16, v18 :: v_dual_mov_b32 v18, v19
	v_mov_b32_e32 v19, v17
	global_store_b128 v[20:21], v[16:19], off
	s_wait_xcnt 0x0
	s_and_not1_b32 exec_lo, exec_lo, s19
	s_cbranch_execz .LBB0_139
.LBB0_127:                              ;   Parent Loop BB0_36 Depth=1
                                        ;     Parent Loop BB0_81 Depth=2
                                        ; =>    This Loop Header: Depth=3
                                        ;         Child Loop BB0_132 Depth 4
	v_ashrrev_i32_e32 v43, 31, v42
	s_mov_b32 s20, exec_lo
	s_delay_alu instid0(VALU_DEP_1)
	v_lshl_add_u64 v[58:59], v[42:43], 4, v[4:5]
	global_load_b64 v[56:57], v[46:47], off th:TH_LOAD_NT
	global_load_b128 v[18:21], v[58:59], off th:TH_LOAD_NT
	s_wait_xcnt 0x0
	v_cmpx_eq_u32_e32 0, v72
	s_cbranch_execz .LBB0_126
; %bb.128:                              ;   in Loop: Header=BB0_127 Depth=3
	s_wait_loadcnt 0x0
	v_cmp_ne_u32_e32 vcc_lo, v3, v19
	v_cmp_ne_u32_e64 s9, v3, v21
	v_mov_b32_e32 v72, 0
	s_or_b32 s9, vcc_lo, s9
	s_delay_alu instid0(SALU_CYCLE_1)
	s_and_saveexec_b32 s21, s9
	s_cbranch_execz .LBB0_125
; %bb.129:                              ;   in Loop: Header=BB0_127 Depth=3
	v_cmp_eq_u32_e64 s9, 0, v61
	v_mov_b32_e32 v72, 0
	s_mov_b32 s22, 0
	s_mov_b32 s25, 1
                                        ; implicit-def: $sgpr23
                                        ; implicit-def: $sgpr24
	s_branch .LBB0_132
.LBB0_130:                              ;   in Loop: Header=BB0_132 Depth=4
	s_or_b32 exec_lo, exec_lo, s26
	s_delay_alu instid0(SALU_CYCLE_1)
	s_and_not1_b32 s24, s24, exec_lo
	s_or_not1_b32 s10, s10, exec_lo
.LBB0_131:                              ;   in Loop: Header=BB0_132 Depth=4
	s_or_b32 exec_lo, exec_lo, s28
	s_delay_alu instid0(SALU_CYCLE_1) | instskip(NEXT) | instid1(SALU_CYCLE_1)
	s_and_b32 s10, exec_lo, s10
	s_or_b32 s22, s10, s22
	s_and_not1_b32 s10, s23, exec_lo
	s_and_b32 s23, s24, exec_lo
	s_delay_alu instid0(SALU_CYCLE_1)
	s_or_b32 s23, s10, s23
	s_and_not1_b32 exec_lo, exec_lo, s22
	s_cbranch_execz .LBB0_137
.LBB0_132:                              ;   Parent Loop BB0_36 Depth=1
                                        ;     Parent Loop BB0_81 Depth=2
                                        ;       Parent Loop BB0_127 Depth=3
                                        ; =>      This Inner Loop Header: Depth=4
	s_wait_loadcnt 0x0
	global_load_b128 v[18:21], v[58:59], off th:TH_LOAD_NT
	s_add_co_i32 s25, s25, 1
	s_mov_b32 s10, -1
	s_cmp_lg_u32 s25, 0x2710
	s_mov_b32 s27, -1
	s_cselect_b32 s26, -1, 0
                                        ; implicit-def: $vgpr16
	s_delay_alu instid0(SALU_CYCLE_1)
	s_and_b32 vcc_lo, exec_lo, s26
	s_cbranch_vccz .LBB0_134
; %bb.133:                              ;   in Loop: Header=BB0_132 Depth=4
	s_or_b32 s24, s24, exec_lo
	s_wait_xcnt 0x0
	s_and_saveexec_b32 s28, s26
	s_cbranch_execz .LBB0_131
	s_branch .LBB0_135
.LBB0_134:                              ;   in Loop: Header=BB0_132 Depth=4
	s_trap 2
	ds_load_b64 v[72:73], v0
	s_and_not1_b32 s26, s26, exec_lo
	s_mov_b32 s25, 0
	s_or_not1_b32 s27, s9, exec_lo
	s_wait_storecnt 0x0
	s_wait_loadcnt_dscnt 0x0
	flat_load_b32 v16, v[72:73] scope:SCOPE_SYS
	s_wait_loadcnt_dscnt 0x0
	global_inv scope:SCOPE_SYS
	s_wait_xcnt 0x0
	v_mov_b32_e32 v72, v61
	v_cmp_eq_u32_e32 vcc_lo, 0, v16
	s_and_b32 s28, vcc_lo, exec_lo
	s_delay_alu instid0(SALU_CYCLE_1)
	s_or_b32 s26, s26, s28
	s_or_b32 s24, s24, exec_lo
	s_and_saveexec_b32 s28, s26
	s_cbranch_execz .LBB0_131
.LBB0_135:                              ;   in Loop: Header=BB0_132 Depth=4
	s_and_saveexec_b32 s26, s27
	s_cbranch_execz .LBB0_130
; %bb.136:                              ;   in Loop: Header=BB0_132 Depth=4
	s_wait_loadcnt 0x0
	v_cmp_eq_u32_e32 vcc_lo, v3, v19
	v_cmp_eq_u32_e64 s10, v3, v21
	s_and_b32 s10, vcc_lo, s10
	s_delay_alu instid0(SALU_CYCLE_1)
	s_or_not1_b32 s10, s10, exec_lo
	s_branch .LBB0_130
.LBB0_137:                              ;   in Loop: Header=BB0_127 Depth=3
	s_or_b32 exec_lo, exec_lo, s22
	s_and_saveexec_b32 s9, s23
	s_delay_alu instid0(SALU_CYCLE_1)
	s_xor_b32 s9, exec_lo, s9
	s_cbranch_execz .LBB0_124
; %bb.138:                              ;   in Loop: Header=BB0_127 Depth=3
	v_or_b32_e32 v72, 1, v61
	s_wait_loadcnt 0x0
	s_wait_storecnt 0x0
	ds_store_b32 v0, v16
	s_trap 2
	v_mov_b32_e32 v61, v72
	s_branch .LBB0_124
.LBB0_139:                              ;   in Loop: Header=BB0_81 Depth=2
	s_or_b32 exec_lo, exec_lo, s19
	s_delay_alu instid0(SALU_CYCLE_1)
	s_or_b32 exec_lo, exec_lo, s18
	s_and_saveexec_b32 s9, s3
	s_cbranch_execz .LBB0_118
.LBB0_140:                              ;   in Loop: Header=BB0_81 Depth=2
	s_and_saveexec_b32 s10, s4
	s_delay_alu instid0(SALU_CYCLE_1)
	s_xor_b32 s10, exec_lo, s10
	s_cbranch_execz .LBB0_155
; %bb.141:                              ;   in Loop: Header=BB0_81 Depth=2
	s_and_saveexec_b32 s18, s5
	s_cbranch_execz .LBB0_154
; %bb.142:                              ;   in Loop: Header=BB0_81 Depth=2
	s_mov_b32 s20, exec_lo
	s_mov_b32 s19, exec_lo
	v_mbcnt_lo_u32_b32 v3, s20, 0
	global_wb scope:SCOPE_DEV
	s_wait_storecnt 0x0
	s_wait_loadcnt_dscnt 0x0
	global_inv scope:SCOPE_DEV
	v_cmpx_eq_u32_e32 0, v3
	s_cbranch_execz .LBB0_144
; %bb.143:                              ;   in Loop: Header=BB0_81 Depth=2
	s_bcnt1_i32_b32 s20, s20
	s_delay_alu instid0(SALU_CYCLE_1)
	v_dual_mov_b32 v5, v2 :: v_dual_mov_b32 v4, s20
	s_wait_loadcnt 0x0
	ds_add_u64 v0, v[4:5]
	s_trap 2
.LBB0_144:                              ;   in Loop: Header=BB0_81 Depth=2
	s_or_b32 exec_lo, exec_lo, s19
	s_trap 2
	ds_load_b64 v[4:5], v0
	s_wait_dscnt 0x0
	v_add_nc_u64_e32 v[54:55], v[54:55], v[82:83]
	s_mov_b32 s19, exec_lo
	s_delay_alu instid0(VALU_DEP_1)
	v_cmpx_lt_u64_e64 v[4:5], v[54:55]
	s_cbranch_execz .LBB0_153
; %bb.145:                              ;   in Loop: Header=BB0_81 Depth=2
	s_mov_b32 s20, 0
	s_mov_b32 s23, 0
                                        ; implicit-def: $sgpr21
                                        ; implicit-def: $sgpr22
	s_branch .LBB0_147
.LBB0_146:                              ;   in Loop: Header=BB0_147 Depth=3
	s_or_b32 exec_lo, exec_lo, s25
	s_delay_alu instid0(SALU_CYCLE_1) | instskip(NEXT) | instid1(SALU_CYCLE_1)
	s_and_b32 s24, exec_lo, s26
	s_or_b32 s20, s24, s20
	s_and_not1_b32 s21, s21, exec_lo
	s_and_b32 s24, s22, exec_lo
	s_delay_alu instid0(SALU_CYCLE_1)
	s_or_b32 s21, s21, s24
	s_and_not1_b32 exec_lo, exec_lo, s20
	s_cbranch_execz .LBB0_151
.LBB0_147:                              ;   Parent Loop BB0_36 Depth=1
                                        ;     Parent Loop BB0_81 Depth=2
                                        ; =>    This Inner Loop Header: Depth=3
	s_add_co_i32 s23, s23, 1
	s_delay_alu instid0(SALU_CYCLE_1) | instskip(SKIP_1) | instid1(SALU_CYCLE_1)
	s_cmp_lg_u32 s23, 0x2710
	s_cselect_b32 s24, -1, 0
	s_and_b32 vcc_lo, exec_lo, s24
	s_cbranch_vccz .LBB0_149
; %bb.148:                              ;   in Loop: Header=BB0_147 Depth=3
	s_mov_b32 s26, -1
	s_or_b32 s22, s22, exec_lo
	s_and_saveexec_b32 s25, s24
	s_cbranch_execz .LBB0_146
	s_branch .LBB0_150
.LBB0_149:                              ;   in Loop: Header=BB0_147 Depth=3
	s_trap 2
	ds_load_b64 v[4:5], v0
	s_and_not1_b32 s24, s24, exec_lo
	s_mov_b32 s23, 0
	s_wait_loadcnt_dscnt 0x0
	flat_load_b32 v3, v[4:5] scope:SCOPE_SYS
	s_wait_loadcnt_dscnt 0x0
	global_inv scope:SCOPE_SYS
	v_cmp_eq_u32_e32 vcc_lo, 0, v3
	s_and_b32 s25, vcc_lo, exec_lo
	s_delay_alu instid0(SALU_CYCLE_1)
	s_or_b32 s24, s24, s25
	s_mov_b32 s26, -1
	s_or_b32 s22, s22, exec_lo
	s_wait_xcnt 0x0
	s_and_saveexec_b32 s25, s24
	s_cbranch_execz .LBB0_146
.LBB0_150:                              ;   in Loop: Header=BB0_147 Depth=3
	s_sleep 1
	s_trap 2
	ds_load_b64 v[4:5], v0
	s_wait_dscnt 0x0
	s_and_not1_b32 s22, s22, exec_lo
	v_cmp_ge_u64_e32 vcc_lo, v[4:5], v[54:55]
	s_or_not1_b32 s26, vcc_lo, exec_lo
	s_branch .LBB0_146
.LBB0_151:                              ;   in Loop: Header=BB0_81 Depth=2
	s_or_b32 exec_lo, exec_lo, s20
	s_and_saveexec_b32 s20, s21
	s_delay_alu instid0(SALU_CYCLE_1)
	s_xor_b32 s20, exec_lo, s20
	s_cbranch_execz .LBB0_153
; %bb.152:                              ;   in Loop: Header=BB0_81 Depth=2
	ds_store_b32 v0, v60
	s_trap 2
.LBB0_153:                              ;   in Loop: Header=BB0_81 Depth=2
	s_or_b32 exec_lo, exec_lo, s19
	;;#ASMSTART
	s_wakeup
	;;#ASMEND
.LBB0_154:                              ;   in Loop: Header=BB0_81 Depth=2
	s_or_b32 exec_lo, exec_lo, s18
.LBB0_155:                              ;   in Loop: Header=BB0_81 Depth=2
	s_and_not1_saveexec_b32 s10, s10
	s_cbranch_execz .LBB0_157
; %bb.156:                              ;   in Loop: Header=BB0_81 Depth=2
	global_wb scope:SCOPE_DEV
	s_wait_storecnt 0x0
	s_wait_loadcnt_dscnt 0x0
	global_inv scope:SCOPE_DEV
	s_barrier_signal -1
	s_barrier_wait -1
.LBB0_157:                              ;   in Loop: Header=BB0_81 Depth=2
	s_or_b32 exec_lo, exec_lo, s10
	s_delay_alu instid0(SALU_CYCLE_1)
	s_or_b32 exec_lo, exec_lo, s9
	s_and_saveexec_b32 s9, s6
	s_cbranch_execnz .LBB0_119
	s_branch .LBB0_120
.LBB0_158:                              ;   in Loop: Header=BB0_36 Depth=1
	s_delay_alu instid0(VALU_DEP_1)
	v_mov_b64_e32 v[20:21], v[118:119]
	s_and_saveexec_b32 s10, s8
	s_cbranch_execnz .LBB0_161
; %bb.159:                              ;   in Loop: Header=BB0_36 Depth=1
	s_or_b32 exec_lo, exec_lo, s10
	s_and_saveexec_b32 s8, s3
	s_cbranch_execnz .LBB0_182
.LBB0_160:                              ;   in Loop: Header=BB0_36 Depth=1
	s_or_b32 exec_lo, exec_lo, s8
	s_and_saveexec_b32 s8, s6
	s_cbranch_execz .LBB0_35
	s_branch .LBB0_200
.LBB0_161:                              ;   in Loop: Header=BB0_36 Depth=1
	flat_load_b32 v4, v[24:25]
	s_wait_loadcnt_dscnt 0x101
	v_dual_mov_b32 v44, v61 :: v_dual_bitop2_b32 v3, 7, v36 bitop3:0x40
	v_lshlrev_b64_e32 v[16:17], 3, v[116:117]
	s_mov_b32 s17, 0
	v_mov_b32_e32 v118, v0
	s_delay_alu instid0(VALU_DEP_3) | instskip(SKIP_1) | instid1(VALU_DEP_4)
	v_mul_lo_u32 v18, v3, s15
	v_add_nc_u32_e32 v3, 1, v36
	v_add_nc_u64_e32 v[114:115], v[10:11], v[16:17]
	s_wait_loadcnt_dscnt 0x0
	s_delay_alu instid0(VALU_DEP_3) | instskip(NEXT) | instid1(VALU_DEP_1)
	v_dual_ashrrev_i32 v19, 31, v18 :: v_dual_ashrrev_i32 v5, 31, v4
	v_mul_u64_e32 v[4:5], v[68:69], v[4:5]
	s_delay_alu instid0(VALU_DEP_1) | instskip(SKIP_1) | instid1(VALU_DEP_4)
	v_lshl_add_u64 v[116:117], v[4:5], 3, v[114:115]
	v_add_nc_u64_e32 v[4:5], v[8:9], v[16:17]
	v_lshl_add_u64 v[114:115], v[18:19], 4, v[34:35]
	s_delay_alu instid0(VALU_DEP_3)
	v_lshl_add_u64 v[116:117], v[0:1], 3, v[116:117]
	s_branch .LBB0_163
.LBB0_162:                              ;   in Loop: Header=BB0_163 Depth=2
	v_sub_nc_u32_e32 v62, v62, v22
	v_add_nc_u64_e32 v[116:117], v[116:117], v[100:101]
	s_wait_xcnt 0x0
	v_add_nc_u64_e32 v[4:5], v[4:5], v[100:101]
	v_add_nc_u32_e32 v118, v118, v22
	v_cmp_gt_i32_e32 vcc_lo, 1, v62
	s_or_b32 s17, vcc_lo, s17
	s_delay_alu instid0(SALU_CYCLE_1)
	s_and_not1_b32 exec_lo, exec_lo, s17
	s_cbranch_execz .LBB0_181
.LBB0_163:                              ;   Parent Loop BB0_36 Depth=1
                                        ; =>  This Loop Header: Depth=2
                                        ;       Child Loop BB0_168 Depth 3
	v_ashrrev_i32_e32 v119, 31, v118
	s_mov_b32 s18, exec_lo
	s_delay_alu instid0(VALU_DEP_1)
	v_lshl_add_u64 v[42:43], v[118:119], 4, v[114:115]
	global_load_b64 v[40:41], v[116:117], off th:TH_LOAD_NT
	global_load_b128 v[16:19], v[42:43], off th:TH_LOAD_NT
	s_wait_xcnt 0x0
	v_cmpx_eq_u32_e32 0, v44
	s_cbranch_execz .LBB0_177
; %bb.164:                              ;   in Loop: Header=BB0_163 Depth=2
	s_wait_loadcnt 0x0
	v_cmp_ne_u32_e32 vcc_lo, v3, v17
	v_cmp_ne_u32_e64 s8, v3, v19
	v_mov_b32_e32 v44, 0
	s_or_b32 s8, vcc_lo, s8
	s_delay_alu instid0(SALU_CYCLE_1)
	s_and_saveexec_b32 s19, s8
	s_cbranch_execz .LBB0_176
; %bb.165:                              ;   in Loop: Header=BB0_163 Depth=2
	v_cmp_eq_u32_e64 s8, 0, v61
	v_mov_b32_e32 v44, 0
	s_mov_b32 s20, 0
	s_mov_b32 s23, 1
                                        ; implicit-def: $sgpr21
                                        ; implicit-def: $sgpr22
	s_branch .LBB0_168
.LBB0_166:                              ;   in Loop: Header=BB0_168 Depth=3
	s_or_b32 exec_lo, exec_lo, s24
	s_delay_alu instid0(SALU_CYCLE_1)
	s_and_not1_b32 s22, s22, exec_lo
	s_or_not1_b32 s9, s9, exec_lo
.LBB0_167:                              ;   in Loop: Header=BB0_168 Depth=3
	s_or_b32 exec_lo, exec_lo, s26
	s_delay_alu instid0(SALU_CYCLE_1) | instskip(NEXT) | instid1(SALU_CYCLE_1)
	s_and_b32 s9, exec_lo, s9
	s_or_b32 s20, s9, s20
	s_and_not1_b32 s9, s21, exec_lo
	s_and_b32 s21, s22, exec_lo
	s_delay_alu instid0(SALU_CYCLE_1)
	s_or_b32 s21, s9, s21
	s_and_not1_b32 exec_lo, exec_lo, s20
	s_cbranch_execz .LBB0_173
.LBB0_168:                              ;   Parent Loop BB0_36 Depth=1
                                        ;     Parent Loop BB0_163 Depth=2
                                        ; =>    This Inner Loop Header: Depth=3
	s_wait_loadcnt 0x0
	global_load_b128 v[16:19], v[42:43], off th:TH_LOAD_NT
	s_add_co_i32 s23, s23, 1
	s_mov_b32 s9, -1
	s_cmp_lg_u32 s23, 0x2710
	s_mov_b32 s25, -1
	s_cselect_b32 s24, -1, 0
                                        ; implicit-def: $vgpr119
	s_delay_alu instid0(SALU_CYCLE_1)
	s_and_b32 vcc_lo, exec_lo, s24
	s_cbranch_vccz .LBB0_170
; %bb.169:                              ;   in Loop: Header=BB0_168 Depth=3
	s_or_b32 s22, s22, exec_lo
	s_wait_xcnt 0x0
	s_and_saveexec_b32 s26, s24
	s_cbranch_execz .LBB0_167
	s_branch .LBB0_171
.LBB0_170:                              ;   in Loop: Header=BB0_168 Depth=3
	s_trap 2
	ds_load_b64 v[44:45], v0
	s_and_not1_b32 s24, s24, exec_lo
	s_mov_b32 s23, 0
	s_or_not1_b32 s25, s8, exec_lo
	s_wait_storecnt 0x0
	s_wait_loadcnt_dscnt 0x0
	flat_load_b32 v119, v[44:45] scope:SCOPE_SYS
	s_wait_loadcnt_dscnt 0x0
	global_inv scope:SCOPE_SYS
	s_wait_xcnt 0x0
	v_mov_b32_e32 v44, v61
	v_cmp_eq_u32_e32 vcc_lo, 0, v119
	s_and_b32 s26, vcc_lo, exec_lo
	s_delay_alu instid0(SALU_CYCLE_1)
	s_or_b32 s24, s24, s26
	s_or_b32 s22, s22, exec_lo
	s_and_saveexec_b32 s26, s24
	s_cbranch_execz .LBB0_167
.LBB0_171:                              ;   in Loop: Header=BB0_168 Depth=3
	s_and_saveexec_b32 s24, s25
	s_cbranch_execz .LBB0_166
; %bb.172:                              ;   in Loop: Header=BB0_168 Depth=3
	s_wait_loadcnt 0x0
	v_cmp_eq_u32_e32 vcc_lo, v3, v17
	v_cmp_eq_u32_e64 s9, v3, v19
	s_and_b32 s9, vcc_lo, s9
	s_delay_alu instid0(SALU_CYCLE_1)
	s_or_not1_b32 s9, s9, exec_lo
	s_branch .LBB0_166
.LBB0_173:                              ;   in Loop: Header=BB0_163 Depth=2
	s_or_b32 exec_lo, exec_lo, s20
	s_and_saveexec_b32 s8, s21
	s_delay_alu instid0(SALU_CYCLE_1)
	s_xor_b32 s8, exec_lo, s8
	s_cbranch_execz .LBB0_175
; %bb.174:                              ;   in Loop: Header=BB0_163 Depth=2
	v_or_b32_e32 v44, 1, v61
	s_wait_loadcnt 0x0
	s_wait_storecnt 0x0
	ds_store_b32 v0, v119
	s_trap 2
	v_mov_b32_e32 v61, v44
.LBB0_175:                              ;   in Loop: Header=BB0_163 Depth=2
	s_or_b32 exec_lo, exec_lo, s8
.LBB0_176:                              ;   in Loop: Header=BB0_163 Depth=2
	s_delay_alu instid0(SALU_CYCLE_1)
	s_or_b32 exec_lo, exec_lo, s19
.LBB0_177:                              ;   in Loop: Header=BB0_163 Depth=2
	s_delay_alu instid0(SALU_CYCLE_1) | instskip(SKIP_4) | instid1(VALU_DEP_2)
	s_or_b32 exec_lo, exec_lo, s18
	s_wait_loadcnt 0x0
	v_mov_b32_e32 v17, v18
	v_cndmask_b32_e64 v18, 0, 1, s7
	s_mov_b32 s8, -1
	v_mul_f64_e32 v[16:17], v[40:41], v[16:17]
	s_delay_alu instid0(VALU_DEP_2)
	v_cmp_ne_u32_e32 vcc_lo, 0, v18
	s_cmp_eq_u32 vcc_lo, exec_lo
	s_cbranch_scc1 .LBB0_179
; %bb.178:                              ;   in Loop: Header=BB0_163 Depth=2
	s_mov_b32 s8, 0
	flat_store_b64 v[4:5], v[16:17]
.LBB0_179:                              ;   in Loop: Header=BB0_163 Depth=2
	s_and_not1_b32 vcc_lo, exec_lo, s8
	s_cbranch_vccnz .LBB0_162
; %bb.180:                              ;   in Loop: Header=BB0_163 Depth=2
	global_store_b64 v[4:5], v[16:17], off
	s_branch .LBB0_162
.LBB0_181:                              ;   in Loop: Header=BB0_36 Depth=1
	s_or_b32 exec_lo, exec_lo, s17
	s_delay_alu instid0(SALU_CYCLE_1)
	s_or_b32 exec_lo, exec_lo, s10
	s_and_saveexec_b32 s8, s3
	s_cbranch_execz .LBB0_160
.LBB0_182:                              ;   in Loop: Header=BB0_36 Depth=1
	s_and_saveexec_b32 s9, s4
	s_delay_alu instid0(SALU_CYCLE_1)
	s_xor_b32 s9, exec_lo, s9
	s_cbranch_execz .LBB0_197
; %bb.183:                              ;   in Loop: Header=BB0_36 Depth=1
	s_and_saveexec_b32 s10, s5
	s_cbranch_execz .LBB0_196
; %bb.184:                              ;   in Loop: Header=BB0_36 Depth=1
	s_mov_b32 s18, exec_lo
	s_mov_b32 s17, exec_lo
	s_wait_loadcnt_dscnt 0x0
	v_mbcnt_lo_u32_b32 v3, s18, 0
	global_wb scope:SCOPE_DEV
	s_wait_storecnt 0x0
	global_inv scope:SCOPE_DEV
	v_cmpx_eq_u32_e32 0, v3
	s_cbranch_execz .LBB0_186
; %bb.185:                              ;   in Loop: Header=BB0_36 Depth=1
	s_bcnt1_i32_b32 s18, s18
	s_delay_alu instid0(SALU_CYCLE_1)
	v_dual_mov_b32 v5, v2 :: v_dual_mov_b32 v4, s18
	s_wait_loadcnt 0x0
	ds_add_u64 v0, v[4:5]
	s_trap 2
.LBB0_186:                              ;   in Loop: Header=BB0_36 Depth=1
	s_or_b32 exec_lo, exec_lo, s17
	s_trap 2
	ds_load_b64 v[4:5], v0
	s_wait_dscnt 0x0
	v_add_nc_u64_e32 v[54:55], v[54:55], v[82:83]
	s_mov_b32 s17, exec_lo
	s_delay_alu instid0(VALU_DEP_1)
	v_cmpx_lt_u64_e64 v[4:5], v[54:55]
	s_cbranch_execz .LBB0_195
; %bb.187:                              ;   in Loop: Header=BB0_36 Depth=1
	s_mov_b32 s18, 0
	s_mov_b32 s21, 0
                                        ; implicit-def: $sgpr19
                                        ; implicit-def: $sgpr20
	s_branch .LBB0_189
.LBB0_188:                              ;   in Loop: Header=BB0_189 Depth=2
	s_or_b32 exec_lo, exec_lo, s23
	s_delay_alu instid0(SALU_CYCLE_1) | instskip(NEXT) | instid1(SALU_CYCLE_1)
	s_and_b32 s22, exec_lo, s24
	s_or_b32 s18, s22, s18
	s_and_not1_b32 s19, s19, exec_lo
	s_and_b32 s22, s20, exec_lo
	s_delay_alu instid0(SALU_CYCLE_1)
	s_or_b32 s19, s19, s22
	s_and_not1_b32 exec_lo, exec_lo, s18
	s_cbranch_execz .LBB0_193
.LBB0_189:                              ;   Parent Loop BB0_36 Depth=1
                                        ; =>  This Inner Loop Header: Depth=2
	s_add_co_i32 s21, s21, 1
	s_delay_alu instid0(SALU_CYCLE_1) | instskip(SKIP_1) | instid1(SALU_CYCLE_1)
	s_cmp_lg_u32 s21, 0x2710
	s_cselect_b32 s22, -1, 0
	s_and_b32 vcc_lo, exec_lo, s22
	s_cbranch_vccz .LBB0_191
; %bb.190:                              ;   in Loop: Header=BB0_189 Depth=2
	s_mov_b32 s24, -1
	s_or_b32 s20, s20, exec_lo
	s_and_saveexec_b32 s23, s22
	s_cbranch_execz .LBB0_188
	s_branch .LBB0_192
.LBB0_191:                              ;   in Loop: Header=BB0_189 Depth=2
	s_trap 2
	ds_load_b64 v[4:5], v0
	s_and_not1_b32 s22, s22, exec_lo
	s_mov_b32 s21, 0
	s_wait_loadcnt_dscnt 0x0
	flat_load_b32 v3, v[4:5] scope:SCOPE_SYS
	s_wait_loadcnt_dscnt 0x0
	global_inv scope:SCOPE_SYS
	v_cmp_eq_u32_e32 vcc_lo, 0, v3
	s_and_b32 s23, vcc_lo, exec_lo
	s_delay_alu instid0(SALU_CYCLE_1)
	s_or_b32 s22, s22, s23
	s_mov_b32 s24, -1
	s_or_b32 s20, s20, exec_lo
	s_and_saveexec_b32 s23, s22
	s_cbranch_execz .LBB0_188
.LBB0_192:                              ;   in Loop: Header=BB0_189 Depth=2
	s_sleep 1
	s_trap 2
	ds_load_b64 v[4:5], v0
	s_wait_dscnt 0x0
	s_and_not1_b32 s20, s20, exec_lo
	v_cmp_ge_u64_e32 vcc_lo, v[4:5], v[54:55]
	s_or_not1_b32 s24, vcc_lo, exec_lo
	s_branch .LBB0_188
.LBB0_193:                              ;   in Loop: Header=BB0_36 Depth=1
	s_or_b32 exec_lo, exec_lo, s18
	s_and_saveexec_b32 s18, s19
	s_delay_alu instid0(SALU_CYCLE_1)
	s_xor_b32 s18, exec_lo, s18
	s_cbranch_execz .LBB0_195
; %bb.194:                              ;   in Loop: Header=BB0_36 Depth=1
	ds_store_b32 v0, v60
	s_trap 2
.LBB0_195:                              ;   in Loop: Header=BB0_36 Depth=1
	s_or_b32 exec_lo, exec_lo, s17
	;;#ASMSTART
	s_wakeup
	;;#ASMEND
.LBB0_196:                              ;   in Loop: Header=BB0_36 Depth=1
	s_or_b32 exec_lo, exec_lo, s10
.LBB0_197:                              ;   in Loop: Header=BB0_36 Depth=1
	s_and_not1_saveexec_b32 s9, s9
	s_cbranch_execz .LBB0_199
; %bb.198:                              ;   in Loop: Header=BB0_36 Depth=1
	global_wb scope:SCOPE_DEV
	s_wait_storecnt 0x0
	s_wait_loadcnt_dscnt 0x0
	global_inv scope:SCOPE_DEV
	s_barrier_signal -1
	s_barrier_wait -1
.LBB0_199:                              ;   in Loop: Header=BB0_36 Depth=1
	s_or_b32 exec_lo, exec_lo, s9
	s_delay_alu instid0(SALU_CYCLE_1)
	s_or_b32 exec_lo, exec_lo, s8
	s_and_saveexec_b32 s8, s6
	s_cbranch_execz .LBB0_35
.LBB0_200:                              ;   in Loop: Header=BB0_36 Depth=1
	v_add_nc_u64_e32 v[48:49], 1, v[48:49]
	global_wb scope:SCOPE_SYS
	s_wait_storecnt 0x0
	s_wait_loadcnt_dscnt 0x0
	flat_store_b64 v[50:51], v[48:49] scope:SCOPE_SYS
	s_branch .LBB0_35
.LBB0_201:
	s_or_b32 exec_lo, exec_lo, s13
	s_delay_alu instid0(SALU_CYCLE_1)
	s_or_b32 exec_lo, exec_lo, s14
	s_and_saveexec_b32 s1, s11
	s_cbranch_execz .LBB0_20
.LBB0_202:
	s_wait_dscnt 0x0
	flat_store_b64 v[32:33], v[48:49] offset:104
	s_wait_xcnt 0x0
	s_or_b32 exec_lo, exec_lo, s1
	s_and_saveexec_b32 s1, s0
	s_cbranch_execnz .LBB0_21
	s_branch .LBB0_22
.LBB0_203:
	s_or_b32 exec_lo, exec_lo, s4
	s_and_saveexec_b32 s4, s5
	s_delay_alu instid0(SALU_CYCLE_1)
	s_xor_b32 s4, exec_lo, s4
	s_cbranch_execz .LBB0_205
; %bb.204:
	v_mov_b32_e32 v0, 1
	ds_store_b32 v0, v0
	s_trap 2
.LBB0_205:
	s_or_b32 exec_lo, exec_lo, s3
	;;#ASMSTART
	s_wakeup
	;;#ASMEND
.LBB0_206:
	s_or_b32 exec_lo, exec_lo, s2
.LBB0_207:
	s_and_not1_saveexec_b32 s1, s1
	s_cbranch_execz .LBB0_209
; %bb.208:
	global_wb scope:SCOPE_DEV
	s_wait_storecnt 0x0
	s_wait_loadcnt_dscnt 0x0
	global_inv scope:SCOPE_DEV
	s_barrier_signal -1
	s_barrier_wait -1
.LBB0_209:
	s_or_b32 exec_lo, exec_lo, s0
	s_clause 0x11
	scratch_load_b32 v73, off, s32
	scratch_load_b32 v72, off, s32 offset:4
	scratch_load_b32 v63, off, s32 offset:8
	;; [unrolled: 1-line block ×17, first 2 shown]
	s_wait_loadcnt_dscnt 0x0
	s_set_pc_i64 s[30:31]
.Lfunc_end0:
	.size	_ZN12_GLOBAL__N_17runRingId8FuncProdIdE7ProtoLLLi0ELi1ELi0EEEviiP15ncclDevWorkColl, .Lfunc_end0-_ZN12_GLOBAL__N_17runRingId8FuncProdIdE7ProtoLLLi0ELi1ELi0EEEviiP15ncclDevWorkColl
                                        ; -- End function
	.set .L_ZN12_GLOBAL__N_17runRingId8FuncProdIdE7ProtoLLLi0ELi1ELi0EEEviiP15ncclDevWorkColl.num_vgpr, 120
	.set .L_ZN12_GLOBAL__N_17runRingId8FuncProdIdE7ProtoLLLi0ELi1ELi0EEEviiP15ncclDevWorkColl.num_agpr, 0
	.set .L_ZN12_GLOBAL__N_17runRingId8FuncProdIdE7ProtoLLLi0ELi1ELi0EEEviiP15ncclDevWorkColl.numbered_sgpr, 33
	.set .L_ZN12_GLOBAL__N_17runRingId8FuncProdIdE7ProtoLLLi0ELi1ELi0EEEviiP15ncclDevWorkColl.num_named_barrier, 0
	.set .L_ZN12_GLOBAL__N_17runRingId8FuncProdIdE7ProtoLLLi0ELi1ELi0EEEviiP15ncclDevWorkColl.private_seg_size, 76
	.set .L_ZN12_GLOBAL__N_17runRingId8FuncProdIdE7ProtoLLLi0ELi1ELi0EEEviiP15ncclDevWorkColl.uses_vcc, 1
	.set .L_ZN12_GLOBAL__N_17runRingId8FuncProdIdE7ProtoLLLi0ELi1ELi0EEEviiP15ncclDevWorkColl.uses_flat_scratch, 1
	.set .L_ZN12_GLOBAL__N_17runRingId8FuncProdIdE7ProtoLLLi0ELi1ELi0EEEviiP15ncclDevWorkColl.has_dyn_sized_stack, 0
	.set .L_ZN12_GLOBAL__N_17runRingId8FuncProdIdE7ProtoLLLi0ELi1ELi0EEEviiP15ncclDevWorkColl.has_recursion, 0
	.set .L_ZN12_GLOBAL__N_17runRingId8FuncProdIdE7ProtoLLLi0ELi1ELi0EEEviiP15ncclDevWorkColl.has_indirect_call, 0
	.section	.AMDGPU.csdata,"",@progbits
; Function info:
; codeLenInByte = 7652
; TotalNumSgprs: 35
; NumVgprs: 120
; ScratchSize: 76
; MemoryBound: 0
	.text
	.p2align	2                               ; -- Begin function _Z48ncclDevFunc_ReduceScatter_RING_LL_Prod_f64_0_0_1v
	.type	_Z48ncclDevFunc_ReduceScatter_RING_LL_Prod_f64_0_0_1v,@function
_Z48ncclDevFunc_ReduceScatter_RING_LL_Prod_f64_0_0_1v: ; @_Z48ncclDevFunc_ReduceScatter_RING_LL_Prod_f64_0_0_1v
; %bb.0:
	s_wait_loadcnt_dscnt 0x0
	s_wait_kmcnt 0x0
	s_mov_b32 s46, s33
	s_mov_b32 s33, s32
	s_or_saveexec_b32 s0, -1
	scratch_store_b32 off, v41, s33 offset:4 ; 4-byte Folded Spill
	s_wait_xcnt 0x0
	s_mov_b32 exec_lo, s0
	s_add_co_i32 s32, s32, 16
	scratch_store_b32 off, v40, s33         ; 4-byte Folded Spill
	v_writelane_b32 v41, s30, 0
	v_writelane_b32 v41, s31, 1
	s_trap 2
	ds_load_b32 v0, v0
	s_wait_dscnt 0x0
	v_cmp_gt_i32_e32 vcc_lo, 1, v0
	s_cbranch_vccnz .LBB1_8
; %bb.1:
	s_wait_xcnt 0x0
	v_and_b32_e32 v40, 0x3ff, v31
	s_mov_b32 s29, s12
	s_mov_b64 s[40:41], s[8:9]
	s_mov_b32 s44, 0
	s_get_pc_i64 s[42:43]
	s_add_nc_u64 s[42:43], s[42:43], _ZN12_GLOBAL__N_17runRingId8FuncProdIdE7ProtoLLLi0ELi1ELi0EEEviiP15ncclDevWorkColl@rel64+4
	s_branch .LBB1_3
.LBB1_2:                                ;   in Loop: Header=BB1_3 Depth=1
	s_or_b32 exec_lo, exec_lo, s45
	s_trap 2
	ds_load_b32 v0, v0
	s_add_co_i32 s44, s44, 1
	s_wait_dscnt 0x0
	v_cmp_lt_i32_e32 vcc_lo, s44, v0
	s_cbranch_vccz .LBB1_8
.LBB1_3:                                ; =>This Inner Loop Header: Depth=1
	s_trap 2
	ds_load_b32 v0, v0
	s_cmp_eq_u32 s44, 0
	s_cbranch_scc1 .LBB1_6
; %bb.4:                                ;   in Loop: Header=BB1_3 Depth=1
	s_trap 2
	s_wait_dscnt 0x0
	ds_load_b32 v1, v0
	s_wait_dscnt 0x0
	v_xor_b32_e32 v1, v1, v0
	s_delay_alu instid0(VALU_DEP_1) | instskip(NEXT) | instid1(VALU_DEP_1)
	v_and_b32_e32 v1, 0xff0000, v1
	v_cmp_eq_u32_e32 vcc_lo, 0, v1
	s_cbranch_vccnz .LBB1_6
; %bb.5:                                ;   in Loop: Header=BB1_3 Depth=1
	s_wait_storecnt 0x0
	s_barrier_signal -1
	s_barrier_wait -1
	ds_load_b32 v0, v0
.LBB1_6:                                ;   in Loop: Header=BB1_3 Depth=1
	s_wait_dscnt 0x0
	v_lshrrev_b32_e32 v0, 11, v0
	s_mov_b32 s45, exec_lo
	s_delay_alu instid0(VALU_DEP_1) | instskip(NEXT) | instid1(VALU_DEP_1)
	v_and_b32_e32 v1, 0x1fe0, v0
	v_cmpx_lt_u32_e64 v40, v1
	s_cbranch_execz .LBB1_2
; %bb.7:                                ;   in Loop: Header=BB1_3 Depth=1
	s_mov_b64 s[0:1], src_shared_base
	s_delay_alu instid0(SALU_CYCLE_1)
	v_dual_mov_b32 v0, v40 :: v_dual_mov_b32 v3, s1
	s_mov_b64 s[8:9], s[40:41]
	s_mov_b32 s12, s29
	s_swap_pc_i64 s[30:31], s[42:43]
	s_branch .LBB1_2
.LBB1_8:
	scratch_load_b32 v40, off, s33          ; 4-byte Folded Reload
	v_readlane_b32 s30, v41, 0
	v_readlane_b32 s31, v41, 1
	s_mov_b32 s32, s33
	s_wait_xcnt 0x0
	s_or_saveexec_b32 s0, -1
	scratch_load_b32 v41, off, s33 offset:4 ; 4-byte Folded Reload
	s_wait_xcnt 0x0
	s_mov_b32 exec_lo, s0
	s_mov_b32 s33, s46
	s_wait_loadcnt 0x0
	s_set_pc_i64 s[30:31]
.Lfunc_end1:
	.size	_Z48ncclDevFunc_ReduceScatter_RING_LL_Prod_f64_0_0_1v, .Lfunc_end1-_Z48ncclDevFunc_ReduceScatter_RING_LL_Prod_f64_0_0_1v
                                        ; -- End function
	.set .L_Z48ncclDevFunc_ReduceScatter_RING_LL_Prod_f64_0_0_1v.num_vgpr, max(42, .L_ZN12_GLOBAL__N_17runRingId8FuncProdIdE7ProtoLLLi0ELi1ELi0EEEviiP15ncclDevWorkColl.num_vgpr)
	.set .L_Z48ncclDevFunc_ReduceScatter_RING_LL_Prod_f64_0_0_1v.num_agpr, max(0, .L_ZN12_GLOBAL__N_17runRingId8FuncProdIdE7ProtoLLLi0ELi1ELi0EEEviiP15ncclDevWorkColl.num_agpr)
	.set .L_Z48ncclDevFunc_ReduceScatter_RING_LL_Prod_f64_0_0_1v.numbered_sgpr, max(47, .L_ZN12_GLOBAL__N_17runRingId8FuncProdIdE7ProtoLLLi0ELi1ELi0EEEviiP15ncclDevWorkColl.numbered_sgpr)
	.set .L_Z48ncclDevFunc_ReduceScatter_RING_LL_Prod_f64_0_0_1v.num_named_barrier, max(0, .L_ZN12_GLOBAL__N_17runRingId8FuncProdIdE7ProtoLLLi0ELi1ELi0EEEviiP15ncclDevWorkColl.num_named_barrier)
	.set .L_Z48ncclDevFunc_ReduceScatter_RING_LL_Prod_f64_0_0_1v.private_seg_size, 16+max(.L_ZN12_GLOBAL__N_17runRingId8FuncProdIdE7ProtoLLLi0ELi1ELi0EEEviiP15ncclDevWorkColl.private_seg_size)
	.set .L_Z48ncclDevFunc_ReduceScatter_RING_LL_Prod_f64_0_0_1v.uses_vcc, or(1, .L_ZN12_GLOBAL__N_17runRingId8FuncProdIdE7ProtoLLLi0ELi1ELi0EEEviiP15ncclDevWorkColl.uses_vcc)
	.set .L_Z48ncclDevFunc_ReduceScatter_RING_LL_Prod_f64_0_0_1v.uses_flat_scratch, or(0, .L_ZN12_GLOBAL__N_17runRingId8FuncProdIdE7ProtoLLLi0ELi1ELi0EEEviiP15ncclDevWorkColl.uses_flat_scratch)
	.set .L_Z48ncclDevFunc_ReduceScatter_RING_LL_Prod_f64_0_0_1v.has_dyn_sized_stack, or(0, .L_ZN12_GLOBAL__N_17runRingId8FuncProdIdE7ProtoLLLi0ELi1ELi0EEEviiP15ncclDevWorkColl.has_dyn_sized_stack)
	.set .L_Z48ncclDevFunc_ReduceScatter_RING_LL_Prod_f64_0_0_1v.has_recursion, or(1, .L_ZN12_GLOBAL__N_17runRingId8FuncProdIdE7ProtoLLLi0ELi1ELi0EEEviiP15ncclDevWorkColl.has_recursion)
	.set .L_Z48ncclDevFunc_ReduceScatter_RING_LL_Prod_f64_0_0_1v.has_indirect_call, or(0, .L_ZN12_GLOBAL__N_17runRingId8FuncProdIdE7ProtoLLLi0ELi1ELi0EEEviiP15ncclDevWorkColl.has_indirect_call)
	.section	.AMDGPU.csdata,"",@progbits
; Function info:
; codeLenInByte = 396
; TotalNumSgprs: 49
; NumVgprs: 120
; ScratchSize: 92
; MemoryBound: 0
	.text
	.p2align	2                               ; -- Begin function _ZN12_GLOBAL__N_17runRingId8FuncProdIdE7ProtoLLLi0ELi2ELi0EEEviiP15ncclDevWorkColl
	.type	_ZN12_GLOBAL__N_17runRingId8FuncProdIdE7ProtoLLLi0ELi2ELi0EEEviiP15ncclDevWorkColl,@function
_ZN12_GLOBAL__N_17runRingId8FuncProdIdE7ProtoLLLi0ELi2ELi0EEEviiP15ncclDevWorkColl: ; @_ZN12_GLOBAL__N_17runRingId8FuncProdIdE7ProtoLLLi0ELi2ELi0EEEviiP15ncclDevWorkColl
; %bb.0:
	s_wait_loadcnt_dscnt 0x0
	s_wait_kmcnt 0x0
	s_clause 0x11
	scratch_store_b32 off, v40, s32 offset:68
	; meta instruction
	scratch_store_b32 off, v41, s32 offset:64
	; meta instruction
	;; [unrolled: 2-line block ×17, first 2 shown]
	scratch_store_b32 off, v73, s32
	s_trap 2
	s_clause 0x2
	flat_load_b32 v12, v[2:3]
	flat_load_b128 v[4:7], v[2:3] offset:72
	flat_load_b64 v[68:69], v[2:3] offset:88
	v_mov_b32_e32 v22, v1
	ds_load_b32 v8, v0
	ds_load_b64 v[24:25], v0
	s_mov_b32 s0, exec_lo
                                        ; implicit-def: $vgpr16_vgpr17
                                        ; implicit-def: $vgpr26_vgpr27
	s_wait_dscnt 0x1
	v_readfirstlane_b32 s12, v8
	s_wait_loadcnt 0x2
	v_bfe_u32 v9, v12, 8, 8
	v_bitop3_b32 v1, v12, 0xff, v12 bitop3:0x3f
	s_delay_alu instid0(VALU_DEP_1) | instskip(NEXT) | instid1(VALU_DEP_1)
	v_add_nc_u32_e32 v10, v9, v1
	v_ashrrev_i32_e32 v11, 31, v10
	s_wait_loadcnt 0x1
	s_delay_alu instid0(VALU_DEP_1) | instskip(SKIP_2) | instid1(VALU_DEP_1)
	v_mul_u64_e32 v[18:19], v[6:7], v[10:11]
	v_and_b32_e32 v10, 0xff, v12
	s_wait_xcnt 0x0
	v_cmpx_ne_u32_e64 v8, v10
	s_xor_b32 s0, exec_lo, s0
	s_cbranch_execz .LBB2_6
; %bb.1:
	s_mov_b32 s1, exec_lo
                                        ; implicit-def: $vgpr16_vgpr17
                                        ; implicit-def: $vgpr26_vgpr27
	v_cmpx_ne_u32_e64 v8, v9
	s_xor_b32 s1, exec_lo, s1
	s_cbranch_execz .LBB2_3
; %bb.2:
	flat_load_b64 v[10:11], v[2:3] offset:96
	v_add_nc_u32_e32 v1, v8, v1
	s_delay_alu instid0(VALU_DEP_1) | instskip(NEXT) | instid1(VALU_DEP_1)
	v_mad_nc_u64_u32 v[26:27], v6, v1, v[4:5]
	v_mad_u32 v8, v7, v1, v27
	v_ashrrev_i32_e32 v1, 31, v1
	s_delay_alu instid0(VALU_DEP_1)
	v_mad_u32 v27, v6, v1, v8
	s_wait_loadcnt_dscnt 0x0
	v_lshrrev_b64 v[16:17], 20, v[10:11]
.LBB2_3:
	s_wait_xcnt 0x0
	s_and_not1_saveexec_b32 s1, s1
	s_cbranch_execz .LBB2_5
; %bb.4:
	flat_load_b32 v1, v[2:3] offset:100
	v_add_nc_u64_e32 v[26:27], v[18:19], v[4:5]
	s_wait_loadcnt 0x1
	v_mov_b64_e32 v[6:7], v[68:69]
	s_wait_loadcnt_dscnt 0x0
	v_lshrrev_b32_e32 v16, 9, v1
.LBB2_5:
	s_wait_xcnt 0x0
	s_or_b32 exec_lo, exec_lo, s1
.LBB2_6:
	s_and_not1_saveexec_b32 s0, s0
	s_cbranch_execz .LBB2_8
; %bb.7:
	flat_load_b64 v[6:7], v[2:3] offset:96
	v_mov_b64_e32 v[26:27], 0
	s_wait_loadcnt_dscnt 0x0
	v_lshlrev_b64_e32 v[16:17], 1, v[6:7]
	v_mov_b64_e32 v[6:7], v[4:5]
.LBB2_8:
	s_wait_xcnt 0x0
	s_or_b32 exec_lo, exec_lo, s0
	s_load_b32 s0, s[8:9], 0x0
	s_clause 0x1
	flat_load_u16 v13, v[2:3] offset:8
	flat_load_b32 v12, v[2:3] offset:4
	s_bfe_u32 s1, ttmp6, 0x4000c
	s_and_b32 s2, ttmp6, 15
	s_add_co_i32 s1, s1, 1
	s_getreg_b32 s3, hwreg(HW_REG_IB_STS2, 6, 4)
	s_mul_i32 s1, ttmp9, s1
	v_mov_b32_e32 v1, 0
	s_add_co_i32 s2, s2, s1
	s_cmp_eq_u32 s3, 0
	s_mov_b32 s1, 0
	s_cselect_b32 s2, ttmp9, s2
	v_mov_b64_e32 v[28:29], 0
	s_wait_kmcnt 0x0
	s_cmp_lt_u32 s2, s0
	s_cselect_b32 s0, 12, 18
	s_delay_alu instid0(SALU_CYCLE_1)
	s_add_nc_u64 s[2:3], s[8:9], s[0:1]
	flat_load_b128 v[8:11], v[2:3] offset:16
	global_load_u16 v17, v1, s[2:3]
	s_wait_xcnt 0x0
	v_ashrrev_i32_e32 v1, 31, v0
	s_trap 2
	ds_load_b32 v2, v0
	v_lshrrev_b32_e32 v3, 27, v1
	s_delay_alu instid0(VALU_DEP_1) | instskip(NEXT) | instid1(VALU_DEP_1)
	v_add_nc_u32_e32 v3, v0, v3
	v_and_b32_e32 v3, 0xffffffe0, v3
	s_wait_dscnt 0x0
	v_cmp_gt_i32_e32 vcc_lo, 0, v2
	v_readfirstlane_b32 s2, v2
	s_and_b32 vcc_lo, exec_lo, vcc_lo
	s_wait_loadcnt 0x2
	v_lshrrev_b64 v[14:15], 31, v[12:13]
	v_sub_nc_u32_e32 v12, v0, v3
	s_delay_alu instid0(VALU_DEP_1) | instskip(NEXT) | instid1(VALU_DEP_3)
	v_cmp_eq_u32_e64 s0, 0, v12
	v_and_b32_e32 v3, 3, v14
	s_delay_alu instid0(VALU_DEP_1)
	v_and_b32_e32 v13, 0xffff, v3
	s_cbranch_vccnz .LBB2_10
; %bb.9:
	s_trap 2
	ds_load_b64 v[14:15], v0
	s_mov_b32 s1, 1
	s_wait_dscnt 0x0
	v_readfirstlane_b32 s4, v14
	v_readfirstlane_b32 s5, v15
	flat_load_b64 v[2:3], v2, s[4:5] scale_offset
	s_wait_loadcnt_dscnt 0x0
	v_mad_nc_u64_u32 v[2:3], 0xa8, v13, v[2:3]
	s_clause 0x1
	flat_load_b64 v[34:35], v[2:3] offset:504
	flat_load_b64 v[36:37], v[2:3] offset:608
	v_add_nc_u64_e32 v[32:33], 0x1f8, v[2:3]
	s_wait_xcnt 0x0
	s_delay_alu instid0(VALU_DEP_1)
	v_dual_cndmask_b32 v3, 0, v33, s0 :: v_dual_cndmask_b32 v2, 0, v32, s0
	s_branch .LBB2_11
.LBB2_10:
	v_mov_b64_e32 v[32:33], 0
	v_mov_b64_e32 v[2:3], 0
                                        ; implicit-def: $vgpr36_vgpr37
                                        ; implicit-def: $vgpr34_vgpr35
.LBB2_11:
	s_trap 2
	ds_load_b32 v14, v0
	s_wait_dscnt 0x0
	v_cmp_gt_i32_e32 vcc_lo, 0, v14
	s_cbranch_vccnz .LBB2_13
; %bb.12:
	s_trap 2
	ds_load_b64 v[20:21], v0
	v_cmp_eq_u32_e32 vcc_lo, 0, v12
	s_wait_dscnt 0x0
	v_readfirstlane_b32 s4, v20
	v_readfirstlane_b32 s5, v21
	flat_load_b64 v[14:15], v14, s[4:5] scale_offset
	s_wait_loadcnt_dscnt 0x0
	v_mad_nc_u64_u32 v[28:29], 0xa8, v13, v[14:15]
	s_clause 0x1
	flat_load_b64 v[38:39], v[28:29]
	flat_load_b64 v[20:21], v[28:29] offset:104
	v_dual_cndmask_b32 v55, 0, v29 :: v_dual_cndmask_b32 v54, 0, v28
	s_branch .LBB2_14
.LBB2_13:
	v_mov_b64_e32 v[54:55], 0
                                        ; implicit-def: $vgpr20_vgpr21
                                        ; implicit-def: $vgpr38_vgpr39
.LBB2_14:
	s_wait_xcnt 0x2
	v_subrev_nc_u32_e32 v14, 32, v22
	v_cmp_gt_i32_e32 vcc_lo, s1, v12
	v_mov_b64_e32 v[12:13], 0
	v_mov_b64_e32 v[50:51], 0
                                        ; implicit-def: $vgpr48_vgpr49
	s_delay_alu instid0(VALU_DEP_4)
	v_cmp_ge_i32_e64 s0, v0, v14
	s_and_b32 s11, s0, vcc_lo
	s_wait_xcnt 0x0
	s_and_saveexec_b32 s0, s11
	s_cbranch_execz .LBB2_16
; %bb.15:
	s_clause 0x1
	flat_load_b64 v[50:51], v[2:3] offset:56
	flat_load_b64 v[48:49], v[2:3] offset:104
.LBB2_16:
	s_wait_xcnt 0x0
	s_or_b32 exec_lo, exec_lo, s0
	v_mov_b64_e32 v[52:53], 0
	v_cmp_gt_i32_e64 s0, s1, v0
                                        ; implicit-def: $vgpr64_vgpr65
	s_and_saveexec_b32 s1, s0
	s_cbranch_execz .LBB2_18
; %bb.17:
	flat_load_b64 v[52:53], v[54:55] offset:56
	s_wait_loadcnt_dscnt 0x0
	flat_load_b64 v[64:65], v[52:53] scope:SCOPE_SYS
	s_wait_loadcnt 0x0
	flat_load_b128 v[12:15], v[54:55] offset:96
.LBB2_18:
	s_wait_xcnt 0x0
	s_or_b32 exec_lo, exec_lo, s1
	v_mov_b64_e32 v[54:55], 0
	s_wait_loadcnt 0x0
	v_and_b32_e32 v30, 0xffff, v17
	s_mov_b32 s14, exec_lo
	v_cmpx_ne_u64_e32 0, v[6:7]
	s_cbranch_execnz .LBB2_34
; %bb.19:
	s_or_b32 exec_lo, exec_lo, s14
	s_and_saveexec_b32 s1, s11
	s_cbranch_execnz .LBB2_202
.LBB2_20:
	s_or_b32 exec_lo, exec_lo, s1
	s_and_saveexec_b32 s1, s0
	s_cbranch_execz .LBB2_22
.LBB2_21:
	s_wait_dscnt 0x0
	flat_store_b64 v[28:29], v[14:15] offset:104
.LBB2_22:
	s_wait_xcnt 0x0
	s_or_b32 exec_lo, exec_lo, s1
	s_delay_alu instid0(SALU_CYCLE_1)
	s_mov_b32 s0, exec_lo
	v_cmpx_ne_u32_e32 32, v22
	s_cbranch_execz .LBB2_209
; %bb.23:
	s_mov_b32 s1, exec_lo
	v_cmpx_ne_u32_e64 v22, v30
	s_xor_b32 s1, exec_lo, s1
	s_cbranch_execz .LBB2_207
; %bb.24:
	v_and_b32_e32 v0, 31, v31
	s_mov_b32 s2, exec_lo
	s_delay_alu instid0(VALU_DEP_1)
	v_cmpx_eq_u32_e32 0, v0
	s_cbranch_execz .LBB2_206
; %bb.25:
	s_mov_b32 s4, exec_lo
	s_mov_b32 s3, exec_lo
	v_mbcnt_lo_u32_b32 v0, s4, 0
	global_wb scope:SCOPE_DEV
	s_wait_storecnt 0x0
	s_wait_loadcnt_dscnt 0x0
	global_inv scope:SCOPE_DEV
	v_cmpx_eq_u32_e32 0, v0
	s_cbranch_execz .LBB2_27
; %bb.26:
	s_bcnt1_i32_b32 s4, s4
	s_delay_alu instid0(SALU_CYCLE_1)
	v_dual_mov_b32 v1, 0 :: v_dual_mov_b32 v0, s4
	s_wait_loadcnt 0x0
	ds_add_u64 v0, v[0:1]
	s_trap 2
.LBB2_27:
	s_or_b32 exec_lo, exec_lo, s3
	s_trap 2
	ds_load_b64 v[2:3], v0
	s_wait_dscnt 0x0
	v_dual_mov_b32 v1, 0 :: v_dual_lshrrev_b32 v0, 5, v22
	s_mov_b32 s3, exec_lo
	s_delay_alu instid0(VALU_DEP_1) | instskip(NEXT) | instid1(VALU_DEP_1)
	v_add_nc_u64_e32 v[0:1], v[54:55], v[0:1]
	v_cmpx_lt_u64_e64 v[2:3], v[0:1]
	s_cbranch_execz .LBB2_205
; %bb.28:
	s_mov_b32 s4, 0
	s_mov_b32 s7, 0
                                        ; implicit-def: $sgpr5
                                        ; implicit-def: $sgpr6
	s_branch .LBB2_30
.LBB2_29:                               ;   in Loop: Header=BB2_30 Depth=1
	s_or_b32 exec_lo, exec_lo, s9
	s_delay_alu instid0(SALU_CYCLE_1) | instskip(NEXT) | instid1(SALU_CYCLE_1)
	s_and_b32 s8, exec_lo, s10
	s_or_b32 s4, s8, s4
	s_and_not1_b32 s5, s5, exec_lo
	s_and_b32 s8, s6, exec_lo
	s_delay_alu instid0(SALU_CYCLE_1)
	s_or_b32 s5, s5, s8
	s_and_not1_b32 exec_lo, exec_lo, s4
	s_cbranch_execz .LBB2_203
.LBB2_30:                               ; =>This Inner Loop Header: Depth=1
	s_add_co_i32 s7, s7, 1
	s_delay_alu instid0(SALU_CYCLE_1) | instskip(SKIP_1) | instid1(SALU_CYCLE_1)
	s_cmp_lg_u32 s7, 0x2710
	s_cselect_b32 s8, -1, 0
	s_and_b32 vcc_lo, exec_lo, s8
	s_cbranch_vccz .LBB2_32
; %bb.31:                               ;   in Loop: Header=BB2_30 Depth=1
	s_mov_b32 s10, -1
	s_or_b32 s6, s6, exec_lo
	s_and_saveexec_b32 s9, s8
	s_cbranch_execz .LBB2_29
	s_branch .LBB2_33
.LBB2_32:                               ;   in Loop: Header=BB2_30 Depth=1
	s_trap 2
	ds_load_b64 v[2:3], v0
	s_and_not1_b32 s8, s8, exec_lo
	s_mov_b32 s7, 0
	s_wait_loadcnt_dscnt 0x0
	flat_load_b32 v2, v[2:3] scope:SCOPE_SYS
	s_wait_loadcnt_dscnt 0x0
	global_inv scope:SCOPE_SYS
	v_cmp_eq_u32_e32 vcc_lo, 0, v2
	s_and_b32 s9, vcc_lo, exec_lo
	s_delay_alu instid0(SALU_CYCLE_1)
	s_or_b32 s8, s8, s9
	s_mov_b32 s10, -1
	s_or_b32 s6, s6, exec_lo
	s_and_saveexec_b32 s9, s8
	s_cbranch_execz .LBB2_29
.LBB2_33:                               ;   in Loop: Header=BB2_30 Depth=1
	s_sleep 1
	s_trap 2
	ds_load_b64 v[2:3], v0
	s_wait_dscnt 0x0
	s_and_not1_b32 s6, s6, exec_lo
	v_cmp_ge_u64_e32 vcc_lo, v[2:3], v[0:1]
	s_or_not1_b32 s10, vcc_lo, exec_lo
	s_branch .LBB2_29
.LBB2_34:
	v_add_nc_u64_e32 v[4:5], v[68:69], v[4:5]
	v_dual_mov_b32 v2, 0 :: v_dual_bitop2_b32 v3, 31, v31 bitop3:0x40
	s_ashr_i32 s1, s2, 31
	s_ashr_i32 s13, s12, 31
	s_lshr_b32 s1, s1, 29
	s_delay_alu instid0(VALU_DEP_1) | instskip(NEXT) | instid1(VALU_DEP_3)
	v_dual_mov_b32 v83, v2 :: v_dual_mov_b32 v23, v2
	v_add_nc_u64_e32 v[68:69], v[4:5], v[18:19]
	v_lshlrev_b64_e32 v[4:5], 3, v[0:1]
	v_dual_mov_b32 v19, v2 :: v_dual_bitop2_b32 v18, 7, v8 bitop3:0x40
	s_add_co_i32 s2, s2, s1
	v_cmp_eq_u32_e64 s5, 0, v3
	v_dual_lshlrev_b32 v3, 3, v16 :: v_dual_mov_b32 v97, v2
	s_delay_alu instid0(VALU_DEP_4)
	v_lshl_add_u64 v[54:55], v[26:27], 3, v[4:5]
	s_ashr_i32 s15, s2, 7
	s_lshl_b64 s[2:3], s[12:13], 2
	v_mov_b64_e32 v[80:81], 0
	v_add_nc_u64_e32 v[70:71], s[2:3], v[24:25]
	v_cmp_ne_u64_e64 s1, 0, v[52:53]
	s_wait_dscnt 0x0
	v_cmp_ne_u64_e64 s2, 0, v[12:13]
	v_add_nc_u64_e32 v[84:85], v[10:11], v[4:5]
	v_cmp_ne_u64_e64 s6, 0, v[50:51]
	v_add_nc_u64_e32 v[8:9], v[8:9], v[4:5]
	v_cmp_eq_u64_e64 s7, 0, v[18:19]
	v_add_nc_u64_e32 v[86:87], v[10:11], v[54:55]
	v_lshlrev_b64_e32 v[98:99], 3, v[68:69]
	v_lshlrev_b64_e32 v[100:101], 3, v[22:23]
	;; [unrolled: 1-line block ×3, first 2 shown]
	v_mov_b64_e32 v[54:55], 0
	v_and_b32_e32 v66, 0x3ffffe, v16
	v_dual_mov_b32 v67, v2 :: v_dual_lshrrev_b32 v82, 5, v22
	v_cmp_ne_u32_e64 s3, 32, v22
	v_cmp_ne_u32_e64 s4, v22, v30
	v_and_b32_e32 v96, 0x1fffff0, v3
	v_dual_mov_b32 v60, 1 :: v_dual_mov_b32 v61, 0
	v_lshl_add_u64 v[112:113], v[0:1], 4, v[38:39]
	s_cmp_gt_i32 s12, 2
	s_mov_b32 s13, 0
	s_cselect_b32 s16, -1, 0
	s_branch .LBB2_36
.LBB2_35:                               ;   in Loop: Header=BB2_36 Depth=1
	s_wait_xcnt 0x0
	s_or_b32 exec_lo, exec_lo, s8
	v_add_nc_u64_e32 v[80:81], v[80:81], v[66:67]
	v_add_nc_u64_e32 v[36:37], 1, v[36:37]
	;; [unrolled: 1-line block ×3, first 2 shown]
	s_delay_alu instid0(VALU_DEP_3) | instskip(SKIP_1) | instid1(SALU_CYCLE_1)
	v_cmp_ge_u64_e32 vcc_lo, v[80:81], v[6:7]
	s_or_b32 s13, vcc_lo, s13
	s_and_not1_b32 exec_lo, exec_lo, s13
	s_cbranch_execz .LBB2_201
.LBB2_36:                               ; =>This Loop Header: Depth=1
                                        ;     Child Loop BB2_41 Depth 2
                                        ;     Child Loop BB2_60 Depth 2
	;; [unrolled: 1-line block ×5, first 2 shown]
                                        ;       Child Loop BB2_86 Depth 3
                                        ;       Child Loop BB2_105 Depth 3
	;; [unrolled: 1-line block ×3, first 2 shown]
                                        ;         Child Loop BB2_132 Depth 4
                                        ;       Child Loop BB2_147 Depth 3
                                        ;       Child Loop BB2_122 Depth 3
                                        ;     Child Loop BB2_163 Depth 2
                                        ;       Child Loop BB2_168 Depth 3
                                        ;     Child Loop BB2_189 Depth 2
	s_wait_loadcnt_dscnt 0x0
	flat_load_b32 v3, v[70:71] offset:-4
	v_sub_nc_u64_e32 v[4:5], v[6:7], v[80:81]
	s_delay_alu instid0(VALU_DEP_1)
	v_min_u64 v[114:115], v[66:67], v[4:5]
	s_wait_xcnt 0x0
	s_and_saveexec_b32 s9, s1
	s_cbranch_execz .LBB2_52
; %bb.37:                               ;   in Loop: Header=BB2_36 Depth=1
	v_add_nc_u64_e32 v[4:5], 1, v[14:15]
	v_add_nc_u64_e32 v[16:17], 8, v[64:65]
	s_mov_b32 s10, exec_lo
	s_delay_alu instid0(VALU_DEP_1)
	v_cmpx_lt_u64_e64 v[16:17], v[4:5]
	s_cbranch_execz .LBB2_49
; %bb.38:                               ;   in Loop: Header=BB2_36 Depth=1
	s_mov_b32 s17, 0
	s_mov_b32 s21, 0
	v_cmp_eq_u32_e32 vcc_lo, 0, v61
                                        ; implicit-def: $sgpr18
                                        ; implicit-def: $sgpr19
                                        ; implicit-def: $sgpr20
	s_branch .LBB2_41
.LBB2_39:                               ;   in Loop: Header=BB2_41 Depth=2
	s_or_b32 exec_lo, exec_lo, s26
	v_mov_b32_e32 v16, 0
	s_and_not1_b32 s8, s20, exec_lo
	s_and_b32 s20, s24, exec_lo
	s_and_not1_b32 s19, s19, exec_lo
	s_and_b32 s23, s23, exec_lo
	s_or_b32 s20, s8, s20
	s_or_b32 s19, s19, s23
.LBB2_40:                               ;   in Loop: Header=BB2_41 Depth=2
	s_or_b32 exec_lo, exec_lo, s22
	s_delay_alu instid0(SALU_CYCLE_1) | instskip(NEXT) | instid1(SALU_CYCLE_1)
	s_and_b32 s8, exec_lo, s19
	s_or_b32 s17, s8, s17
	s_and_not1_b32 s8, s18, exec_lo
	s_and_b32 s18, s20, exec_lo
	s_delay_alu instid0(SALU_CYCLE_1)
	s_or_b32 s18, s8, s18
	s_and_not1_b32 exec_lo, exec_lo, s17
	s_cbranch_execz .LBB2_46
.LBB2_41:                               ;   Parent Loop BB2_36 Depth=1
                                        ; =>  This Inner Loop Header: Depth=2
	s_sleep 1
	s_wait_loadcnt_dscnt 0x0
	flat_load_b64 v[64:65], v[52:53] scope:SCOPE_DEV
	v_mov_b32_e32 v16, v61
	s_or_b32 s20, s20, exec_lo
	s_or_b32 s19, s19, exec_lo
                                        ; implicit-def: $vgpr15
	s_wait_xcnt 0x0
	s_and_saveexec_b32 s22, vcc_lo
	s_cbranch_execz .LBB2_40
; %bb.42:                               ;   in Loop: Header=BB2_41 Depth=2
	s_add_co_i32 s21, s21, 1
	s_mov_b32 s23, -1
	s_cmp_lg_u32 s21, 0x2710
	s_mov_b32 s24, -1
	s_cselect_b32 s25, -1, 0
	s_cmp_eq_u32 s21, 0x2710
                                        ; implicit-def: $vgpr15
	s_cbranch_scc1 .LBB2_44
; %bb.43:                               ;   in Loop: Header=BB2_41 Depth=2
	s_and_saveexec_b32 s26, s25
	s_cbranch_execz .LBB2_39
	s_branch .LBB2_45
.LBB2_44:                               ;   in Loop: Header=BB2_41 Depth=2
	s_trap 2
	ds_load_b64 v[16:17], v0
	s_and_not1_b32 s21, s25, exec_lo
	s_mov_b32 s24, 0
	s_wait_storecnt 0x0
	s_wait_loadcnt_dscnt 0x0
	flat_load_b32 v15, v[16:17] scope:SCOPE_SYS
	s_wait_loadcnt_dscnt 0x0
	global_inv scope:SCOPE_SYS
	v_cmp_eq_u32_e64 s8, 0, v15
	s_and_b32 s8, s8, exec_lo
	s_delay_alu instid0(SALU_CYCLE_1)
	s_or_b32 s25, s21, s8
	s_mov_b32 s21, 0
	s_wait_xcnt 0x0
	s_and_saveexec_b32 s26, s25
	s_cbranch_execz .LBB2_39
.LBB2_45:                               ;   in Loop: Header=BB2_41 Depth=2
	s_wait_loadcnt_dscnt 0x0
	v_add_nc_u64_e32 v[16:17], 8, v[64:65]
	s_or_b32 s24, s24, exec_lo
	s_delay_alu instid0(VALU_DEP_1)
	v_cmp_ge_u64_e64 s8, v[16:17], v[4:5]
	s_or_not1_b32 s23, s8, exec_lo
	s_branch .LBB2_39
.LBB2_46:                               ;   in Loop: Header=BB2_36 Depth=1
	s_or_b32 exec_lo, exec_lo, s17
	s_xor_b32 s8, s18, -1
	s_delay_alu instid0(SALU_CYCLE_1) | instskip(NEXT) | instid1(SALU_CYCLE_1)
	s_and_saveexec_b32 s17, s8
	s_xor_b32 s8, exec_lo, s17
	s_cbranch_execz .LBB2_48
; %bb.47:                               ;   in Loop: Header=BB2_36 Depth=1
	v_mov_b32_e32 v16, 1
	s_wait_storecnt 0x0
	s_wait_loadcnt_dscnt 0x0
	ds_store_b32 v0, v15
	s_trap 2
.LBB2_48:                               ;   in Loop: Header=BB2_36 Depth=1
	s_or_b32 exec_lo, exec_lo, s8
	v_mov_b32_e32 v61, v16
.LBB2_49:                               ;   in Loop: Header=BB2_36 Depth=1
	s_or_b32 exec_lo, exec_lo, s10
	s_and_saveexec_b32 s8, s2
	s_cbranch_execz .LBB2_51
; %bb.50:                               ;   in Loop: Header=BB2_36 Depth=1
	v_and_b32_e32 v16, 0x7ffffff8, v14
	v_dual_mov_b32 v17, v2 :: v_dual_bitop2_b32 v14, 7, v14 bitop3:0x40
	s_delay_alu instid0(VALU_DEP_1) | instskip(NEXT) | instid1(VALU_DEP_2)
	v_cmp_eq_u64_e32 vcc_lo, 0x7ffffff8, v[16:17]
	v_mad_nc_u64_u32 v[14:15], v14, 24, v[12:13]
	v_cndmask_b32_e64 v16, v114, s15, vcc_lo
	s_delay_alu instid0(VALU_DEP_1) | instskip(NEXT) | instid1(VALU_DEP_1)
	v_lshlrev_b32_e32 v16, 4, v16
	v_ashrrev_i32_e32 v17, 31, v16
	flat_store_b64 v[14:15], v[16:17] offset:8 scope:SCOPE_SYS
	s_wait_storecnt 0x0
.LBB2_51:                               ;   in Loop: Header=BB2_36 Depth=1
	s_wait_xcnt 0x0
	s_or_b32 exec_lo, exec_lo, s8
	v_mov_b64_e32 v[14:15], v[4:5]
.LBB2_52:                               ;   in Loop: Header=BB2_36 Depth=1
	s_or_b32 exec_lo, exec_lo, s9
	s_and_saveexec_b32 s8, s3
	s_cbranch_execz .LBB2_71
; %bb.53:                               ;   in Loop: Header=BB2_36 Depth=1
	s_and_saveexec_b32 s9, s4
	s_delay_alu instid0(SALU_CYCLE_1)
	s_xor_b32 s9, exec_lo, s9
	s_cbranch_execz .LBB2_68
; %bb.54:                               ;   in Loop: Header=BB2_36 Depth=1
	s_and_saveexec_b32 s10, s5
	s_cbranch_execz .LBB2_67
; %bb.55:                               ;   in Loop: Header=BB2_36 Depth=1
	s_mov_b32 s18, exec_lo
	s_mov_b32 s17, exec_lo
	v_mbcnt_lo_u32_b32 v4, s18, 0
	global_wb scope:SCOPE_DEV
	s_wait_storecnt 0x0
	s_wait_loadcnt_dscnt 0x0
	global_inv scope:SCOPE_DEV
	v_cmpx_eq_u32_e32 0, v4
	s_cbranch_execz .LBB2_57
; %bb.56:                               ;   in Loop: Header=BB2_36 Depth=1
	s_bcnt1_i32_b32 s18, s18
	s_delay_alu instid0(SALU_CYCLE_1)
	v_dual_mov_b32 v5, v2 :: v_dual_mov_b32 v4, s18
	s_wait_loadcnt 0x0
	ds_add_u64 v0, v[4:5]
	s_trap 2
.LBB2_57:                               ;   in Loop: Header=BB2_36 Depth=1
	s_or_b32 exec_lo, exec_lo, s17
	s_trap 2
	ds_load_b64 v[4:5], v0
	s_wait_dscnt 0x0
	v_add_nc_u64_e32 v[54:55], v[54:55], v[82:83]
	s_mov_b32 s17, exec_lo
	s_delay_alu instid0(VALU_DEP_1)
	v_cmpx_lt_u64_e64 v[4:5], v[54:55]
	s_cbranch_execz .LBB2_66
; %bb.58:                               ;   in Loop: Header=BB2_36 Depth=1
	s_mov_b32 s18, 0
	s_mov_b32 s21, 0
                                        ; implicit-def: $sgpr19
                                        ; implicit-def: $sgpr20
	s_branch .LBB2_60
.LBB2_59:                               ;   in Loop: Header=BB2_60 Depth=2
	s_or_b32 exec_lo, exec_lo, s23
	s_delay_alu instid0(SALU_CYCLE_1) | instskip(NEXT) | instid1(SALU_CYCLE_1)
	s_and_b32 s22, exec_lo, s24
	s_or_b32 s18, s22, s18
	s_and_not1_b32 s19, s19, exec_lo
	s_and_b32 s22, s20, exec_lo
	s_delay_alu instid0(SALU_CYCLE_1)
	s_or_b32 s19, s19, s22
	s_and_not1_b32 exec_lo, exec_lo, s18
	s_cbranch_execz .LBB2_64
.LBB2_60:                               ;   Parent Loop BB2_36 Depth=1
                                        ; =>  This Inner Loop Header: Depth=2
	s_add_co_i32 s21, s21, 1
	s_delay_alu instid0(SALU_CYCLE_1) | instskip(SKIP_1) | instid1(SALU_CYCLE_1)
	s_cmp_lg_u32 s21, 0x2710
	s_cselect_b32 s22, -1, 0
	s_and_b32 vcc_lo, exec_lo, s22
	s_cbranch_vccz .LBB2_62
; %bb.61:                               ;   in Loop: Header=BB2_60 Depth=2
	s_mov_b32 s24, -1
	s_or_b32 s20, s20, exec_lo
	s_and_saveexec_b32 s23, s22
	s_cbranch_execz .LBB2_59
	s_branch .LBB2_63
.LBB2_62:                               ;   in Loop: Header=BB2_60 Depth=2
	s_trap 2
	ds_load_b64 v[4:5], v0
	s_and_not1_b32 s22, s22, exec_lo
	s_mov_b32 s21, 0
	s_wait_loadcnt_dscnt 0x0
	flat_load_b32 v4, v[4:5] scope:SCOPE_SYS
	s_wait_loadcnt_dscnt 0x0
	global_inv scope:SCOPE_SYS
	v_cmp_eq_u32_e32 vcc_lo, 0, v4
	s_and_b32 s23, vcc_lo, exec_lo
	s_delay_alu instid0(SALU_CYCLE_1)
	s_or_b32 s22, s22, s23
	s_mov_b32 s24, -1
	s_or_b32 s20, s20, exec_lo
	s_wait_xcnt 0x0
	s_and_saveexec_b32 s23, s22
	s_cbranch_execz .LBB2_59
.LBB2_63:                               ;   in Loop: Header=BB2_60 Depth=2
	s_sleep 1
	s_trap 2
	ds_load_b64 v[4:5], v0
	s_wait_dscnt 0x0
	s_and_not1_b32 s20, s20, exec_lo
	v_cmp_ge_u64_e32 vcc_lo, v[4:5], v[54:55]
	s_or_not1_b32 s24, vcc_lo, exec_lo
	s_branch .LBB2_59
.LBB2_64:                               ;   in Loop: Header=BB2_36 Depth=1
	s_or_b32 exec_lo, exec_lo, s18
	s_and_saveexec_b32 s18, s19
	s_delay_alu instid0(SALU_CYCLE_1)
	s_xor_b32 s18, exec_lo, s18
	s_cbranch_execz .LBB2_66
; %bb.65:                               ;   in Loop: Header=BB2_36 Depth=1
	ds_store_b32 v0, v60
	s_trap 2
.LBB2_66:                               ;   in Loop: Header=BB2_36 Depth=1
	s_or_b32 exec_lo, exec_lo, s17
	;;#ASMSTART
	s_wakeup
	;;#ASMEND
.LBB2_67:                               ;   in Loop: Header=BB2_36 Depth=1
	s_or_b32 exec_lo, exec_lo, s10
.LBB2_68:                               ;   in Loop: Header=BB2_36 Depth=1
	s_and_not1_saveexec_b32 s9, s9
	s_cbranch_execz .LBB2_70
; %bb.69:                               ;   in Loop: Header=BB2_36 Depth=1
	global_wb scope:SCOPE_DEV
	s_wait_storecnt 0x0
	s_wait_loadcnt_dscnt 0x0
	global_inv scope:SCOPE_DEV
	s_barrier_signal -1
	s_barrier_wait -1
.LBB2_70:                               ;   in Loop: Header=BB2_36 Depth=1
	s_or_b32 exec_lo, exec_lo, s9
.LBB2_71:                               ;   in Loop: Header=BB2_36 Depth=1
	s_delay_alu instid0(SALU_CYCLE_1) | instskip(NEXT) | instid1(VALU_DEP_1)
	s_or_b32 exec_lo, exec_lo, s8
	v_dual_sub_nc_u32 v62, v114, v0 :: v_dual_mov_b32 v116, v0
	v_dual_add_nc_u32 v17, 1, v20 :: v_dual_bitop2_b32 v115, 7, v20 bitop3:0x40
	s_delay_alu instid0(VALU_DEP_2)
	v_cmp_lt_i32_e64 s8, 0, v62
	s_and_saveexec_b32 s9, s8
	s_cbranch_execz .LBB2_75
; %bb.72:                               ;   in Loop: Header=BB2_36 Depth=1
	s_wait_loadcnt_dscnt 0x0
	v_mad_nc_u64_u32 v[4:5], v98, v3, v[86:87]
	v_mul_lo_u32 v18, v115, s15
	s_mov_b32 s10, 0
	v_mov_b32_e32 v116, v0
	s_delay_alu instid0(VALU_DEP_3) | instskip(NEXT) | instid1(VALU_DEP_3)
	v_mad_u32 v5, v99, v3, v5
	v_dual_ashrrev_i32 v3, 31, v3 :: v_dual_ashrrev_i32 v19, 31, v18
	s_delay_alu instid0(VALU_DEP_1) | instskip(NEXT) | instid1(VALU_DEP_2)
	v_lshl_add_u64 v[118:119], v[18:19], 4, v[112:113]
	v_mad_u32 v5, v98, v3, v5
	v_mov_b32_e32 v3, v62
.LBB2_73:                               ;   Parent Loop BB2_36 Depth=1
                                        ; =>  This Inner Loop Header: Depth=2
	global_load_b64 v[40:41], v[4:5], off th:TH_LOAD_NT
	v_dual_mov_b32 v19, v17 :: v_dual_sub_nc_u32 v3, v3, v22
	s_wait_xcnt 0x0
	v_add_nc_u64_e32 v[4:5], v[4:5], v[100:101]
	v_add_nc_u32_e32 v116, v116, v22
	s_delay_alu instid0(VALU_DEP_3)
	v_cmp_gt_i32_e32 vcc_lo, 1, v3
	s_or_b32 s10, vcc_lo, s10
	s_wait_loadcnt 0x0
	v_dual_mov_b32 v16, v40 :: v_dual_mov_b32 v18, v41
	global_store_b128 v[118:119], v[16:19], off
	s_wait_xcnt 0x0
	v_add_nc_u64_e32 v[118:119], v[118:119], v[102:103]
	s_and_not1_b32 exec_lo, exec_lo, s10
	s_cbranch_execnz .LBB2_73
; %bb.74:                               ;   in Loop: Header=BB2_36 Depth=1
	s_or_b32 exec_lo, exec_lo, s10
.LBB2_75:                               ;   in Loop: Header=BB2_36 Depth=1
	s_delay_alu instid0(SALU_CYCLE_1) | instskip(SKIP_3) | instid1(VALU_DEP_2)
	s_or_b32 exec_lo, exec_lo, s9
	v_and_b32_e32 v4, 0x7ffffff8, v20
	v_mov_b32_e32 v5, v2
	v_cmp_gt_i32_e64 s9, s15, v116
	v_cmp_eq_u64_e32 vcc_lo, 0x7ffffff8, v[4:5]
	s_and_b32 s10, vcc_lo, s9
	s_delay_alu instid0(SALU_CYCLE_1)
	s_and_saveexec_b32 s9, s10
	s_cbranch_execz .LBB2_78
; %bb.76:                               ;   in Loop: Header=BB2_36 Depth=1
	v_mul_lo_u32 v4, v115, s15
	v_ashrrev_i32_e32 v117, 31, v116
	s_mov_b32 s10, 0
	s_wait_loadcnt_dscnt 0x0
	s_delay_alu instid0(VALU_DEP_2) | instskip(NEXT) | instid1(VALU_DEP_1)
	v_dual_mov_b32 v3, v17 :: v_dual_ashrrev_i32 v5, 31, v4
	v_lshlrev_b64_e32 v[4:5], 4, v[4:5]
	s_delay_alu instid0(VALU_DEP_1) | instskip(NEXT) | instid1(VALU_DEP_1)
	v_lshl_add_u64 v[4:5], v[116:117], 4, v[4:5]
	v_add_nc_u64_e32 v[18:19], v[38:39], v[4:5]
.LBB2_77:                               ;   Parent Loop BB2_36 Depth=1
                                        ; =>  This Inner Loop Header: Depth=2
	v_dual_mov_b32 v4, v2 :: v_dual_add_nc_u32 v116, v116, v22
	v_mov_b32_e32 v5, v3
	s_delay_alu instid0(VALU_DEP_2) | instskip(SKIP_4) | instid1(SALU_CYCLE_1)
	v_cmp_le_i32_e32 vcc_lo, s15, v116
	global_store_b128 v[18:19], v[2:5], off
	s_wait_xcnt 0x0
	v_add_nc_u64_e32 v[18:19], v[18:19], v[102:103]
	s_or_b32 s10, vcc_lo, s10
	s_and_not1_b32 exec_lo, exec_lo, s10
	s_cbranch_execnz .LBB2_77
.LBB2_78:                               ;   in Loop: Header=BB2_36 Depth=1
	s_or_b32 exec_lo, exec_lo, s9
	v_add_nc_u64_e32 v[116:117], v[80:81], v[26:27]
	v_add_nc_u64_e32 v[118:119], 1, v[20:21]
	s_and_not1_b32 vcc_lo, exec_lo, s16
	s_cbranch_vccnz .LBB2_158
; %bb.79:                               ;   in Loop: Header=BB2_36 Depth=1
	s_delay_alu instid0(VALU_DEP_2)
	v_lshl_add_u64 v[40:41], v[116:117], 3, v[84:85]
	v_add_nc_u16 v115, v20, 1
	s_mov_b32 s17, 2
	s_branch .LBB2_81
.LBB2_80:                               ;   in Loop: Header=BB2_81 Depth=2
	s_or_b32 exec_lo, exec_lo, s9
	v_add_nc_u64_e32 v[36:37], 1, v[36:37]
	v_add_nc_u64_e32 v[118:119], 1, v[118:119]
	v_add_nc_u16 v115, v115, 1
	s_add_co_i32 s17, s17, 1
	s_delay_alu instid0(SALU_CYCLE_1)
	s_cmp_eq_u32 s17, s12
	s_cbranch_scc1 .LBB2_158
.LBB2_81:                               ;   Parent Loop BB2_36 Depth=1
                                        ; =>  This Loop Header: Depth=2
                                        ;       Child Loop BB2_86 Depth 3
                                        ;       Child Loop BB2_105 Depth 3
                                        ;       Child Loop BB2_127 Depth 3
                                        ;         Child Loop BB2_132 Depth 4
                                        ;       Child Loop BB2_147 Depth 3
                                        ;       Child Loop BB2_122 Depth 3
	s_sub_co_i32 s9, s12, s17
	v_readfirstlane_b32 s18, v24
	s_wait_loadcnt_dscnt 0x0
	v_mov_b32_e32 v3, s9
	v_readfirstlane_b32 s19, v25
	flat_load_b32 v4, v3, s[18:19] scale_offset
	s_wait_xcnt 0x0
	s_and_saveexec_b32 s10, s1
	s_cbranch_execz .LBB2_97
; %bb.82:                               ;   in Loop: Header=BB2_81 Depth=2
	v_add_nc_u64_e32 v[16:17], 1, v[14:15]
	v_add_nc_u64_e32 v[18:19], 8, v[64:65]
	s_mov_b32 s18, exec_lo
	s_delay_alu instid0(VALU_DEP_1)
	v_cmpx_lt_u64_e64 v[18:19], v[16:17]
	s_cbranch_execz .LBB2_94
; %bb.83:                               ;   in Loop: Header=BB2_81 Depth=2
	s_mov_b32 s19, 0
	s_mov_b32 s23, 0
	v_cmp_eq_u32_e32 vcc_lo, 0, v61
                                        ; implicit-def: $sgpr20
                                        ; implicit-def: $sgpr21
                                        ; implicit-def: $sgpr22
	s_branch .LBB2_86
.LBB2_84:                               ;   in Loop: Header=BB2_86 Depth=3
	s_or_b32 exec_lo, exec_lo, s28
	v_mov_b32_e32 v5, 0
	s_and_not1_b32 s9, s22, exec_lo
	s_and_b32 s22, s26, exec_lo
	s_and_not1_b32 s21, s21, exec_lo
	s_and_b32 s25, s25, exec_lo
	s_or_b32 s22, s9, s22
	s_or_b32 s21, s21, s25
.LBB2_85:                               ;   in Loop: Header=BB2_86 Depth=3
	s_or_b32 exec_lo, exec_lo, s24
	s_delay_alu instid0(SALU_CYCLE_1) | instskip(NEXT) | instid1(SALU_CYCLE_1)
	s_and_b32 s9, exec_lo, s21
	s_or_b32 s19, s9, s19
	s_and_not1_b32 s9, s20, exec_lo
	s_and_b32 s20, s22, exec_lo
	s_delay_alu instid0(SALU_CYCLE_1)
	s_or_b32 s20, s9, s20
	s_and_not1_b32 exec_lo, exec_lo, s19
	s_cbranch_execz .LBB2_91
.LBB2_86:                               ;   Parent Loop BB2_36 Depth=1
                                        ;     Parent Loop BB2_81 Depth=2
                                        ; =>    This Inner Loop Header: Depth=3
	s_sleep 1
	s_wait_loadcnt_dscnt 0x0
	flat_load_b64 v[64:65], v[52:53] scope:SCOPE_DEV
	v_mov_b32_e32 v5, v61
	s_or_b32 s22, s22, exec_lo
	s_or_b32 s21, s21, exec_lo
                                        ; implicit-def: $vgpr3
	s_wait_xcnt 0x0
	s_and_saveexec_b32 s24, vcc_lo
	s_cbranch_execz .LBB2_85
; %bb.87:                               ;   in Loop: Header=BB2_86 Depth=3
	s_add_co_i32 s23, s23, 1
	s_mov_b32 s25, -1
	s_cmp_lg_u32 s23, 0x2710
	s_mov_b32 s26, -1
	s_cselect_b32 s27, -1, 0
	s_cmp_eq_u32 s23, 0x2710
                                        ; implicit-def: $vgpr3
	s_cbranch_scc1 .LBB2_89
; %bb.88:                               ;   in Loop: Header=BB2_86 Depth=3
	s_and_saveexec_b32 s28, s27
	s_cbranch_execz .LBB2_84
	s_branch .LBB2_90
.LBB2_89:                               ;   in Loop: Header=BB2_86 Depth=3
	s_trap 2
	ds_load_b64 v[18:19], v0
	s_and_not1_b32 s23, s27, exec_lo
	s_mov_b32 s26, 0
	s_wait_storecnt 0x0
	s_wait_loadcnt_dscnt 0x0
	flat_load_b32 v3, v[18:19] scope:SCOPE_SYS
	s_wait_loadcnt_dscnt 0x0
	global_inv scope:SCOPE_SYS
	v_cmp_eq_u32_e64 s9, 0, v3
	s_and_b32 s9, s9, exec_lo
	s_delay_alu instid0(SALU_CYCLE_1)
	s_or_b32 s27, s23, s9
	s_mov_b32 s23, 0
	s_and_saveexec_b32 s28, s27
	s_cbranch_execz .LBB2_84
.LBB2_90:                               ;   in Loop: Header=BB2_86 Depth=3
	s_wait_loadcnt_dscnt 0x0
	v_add_nc_u64_e32 v[18:19], 8, v[64:65]
	s_or_b32 s26, s26, exec_lo
	s_delay_alu instid0(VALU_DEP_1)
	v_cmp_ge_u64_e64 s9, v[18:19], v[16:17]
	s_or_not1_b32 s25, s9, exec_lo
	s_branch .LBB2_84
.LBB2_91:                               ;   in Loop: Header=BB2_81 Depth=2
	s_or_b32 exec_lo, exec_lo, s19
	s_xor_b32 s9, s20, -1
	s_delay_alu instid0(SALU_CYCLE_1) | instskip(NEXT) | instid1(SALU_CYCLE_1)
	s_and_saveexec_b32 s19, s9
	s_xor_b32 s9, exec_lo, s19
	s_cbranch_execz .LBB2_93
; %bb.92:                               ;   in Loop: Header=BB2_81 Depth=2
	v_mov_b32_e32 v5, 1
	s_wait_storecnt 0x0
	s_wait_loadcnt_dscnt 0x0
	ds_store_b32 v0, v3
	s_trap 2
.LBB2_93:                               ;   in Loop: Header=BB2_81 Depth=2
	s_or_b32 exec_lo, exec_lo, s9
	v_mov_b32_e32 v61, v5
.LBB2_94:                               ;   in Loop: Header=BB2_81 Depth=2
	s_or_b32 exec_lo, exec_lo, s18
	s_and_saveexec_b32 s9, s2
	s_cbranch_execz .LBB2_96
; %bb.95:                               ;   in Loop: Header=BB2_81 Depth=2
	v_and_b32_e32 v18, 0x7ffffff8, v14
	v_dual_mov_b32 v19, v2 :: v_dual_bitop2_b32 v3, 7, v14 bitop3:0x40
	s_delay_alu instid0(VALU_DEP_1) | instskip(NEXT) | instid1(VALU_DEP_2)
	v_cmp_eq_u64_e32 vcc_lo, 0x7ffffff8, v[18:19]
	v_mad_nc_u64_u32 v[14:15], v3, 24, v[12:13]
	v_cndmask_b32_e64 v5, v114, s15, vcc_lo
	s_delay_alu instid0(VALU_DEP_1) | instskip(NEXT) | instid1(VALU_DEP_1)
	v_lshlrev_b32_e32 v18, 4, v5
	v_ashrrev_i32_e32 v19, 31, v18
	flat_store_b64 v[14:15], v[18:19] offset:8 scope:SCOPE_SYS
	s_wait_storecnt 0x0
.LBB2_96:                               ;   in Loop: Header=BB2_81 Depth=2
	s_wait_xcnt 0x0
	s_or_b32 exec_lo, exec_lo, s9
	v_mov_b64_e32 v[14:15], v[16:17]
.LBB2_97:                               ;   in Loop: Header=BB2_81 Depth=2
	s_or_b32 exec_lo, exec_lo, s10
	s_and_saveexec_b32 s9, s3
	s_cbranch_execz .LBB2_116
; %bb.98:                               ;   in Loop: Header=BB2_81 Depth=2
	s_and_saveexec_b32 s10, s4
	s_delay_alu instid0(SALU_CYCLE_1)
	s_xor_b32 s10, exec_lo, s10
	s_cbranch_execz .LBB2_113
; %bb.99:                               ;   in Loop: Header=BB2_81 Depth=2
	s_and_saveexec_b32 s18, s5
	s_cbranch_execz .LBB2_112
; %bb.100:                              ;   in Loop: Header=BB2_81 Depth=2
	s_mov_b32 s20, exec_lo
	s_mov_b32 s19, exec_lo
	v_mbcnt_lo_u32_b32 v3, s20, 0
	global_wb scope:SCOPE_DEV
	s_wait_storecnt 0x0
	s_wait_loadcnt_dscnt 0x0
	global_inv scope:SCOPE_DEV
	v_cmpx_eq_u32_e32 0, v3
	s_cbranch_execz .LBB2_102
; %bb.101:                              ;   in Loop: Header=BB2_81 Depth=2
	s_bcnt1_i32_b32 s20, s20
	s_delay_alu instid0(SALU_CYCLE_1)
	v_dual_mov_b32 v17, v2 :: v_dual_mov_b32 v16, s20
	s_wait_loadcnt 0x0
	ds_add_u64 v0, v[16:17]
	s_trap 2
.LBB2_102:                              ;   in Loop: Header=BB2_81 Depth=2
	s_or_b32 exec_lo, exec_lo, s19
	s_trap 2
	ds_load_b64 v[16:17], v0
	s_wait_dscnt 0x0
	v_add_nc_u64_e32 v[54:55], v[54:55], v[82:83]
	s_mov_b32 s19, exec_lo
	s_delay_alu instid0(VALU_DEP_1)
	v_cmpx_lt_u64_e64 v[16:17], v[54:55]
	s_cbranch_execz .LBB2_111
; %bb.103:                              ;   in Loop: Header=BB2_81 Depth=2
	s_mov_b32 s20, 0
	s_mov_b32 s23, 0
                                        ; implicit-def: $sgpr21
                                        ; implicit-def: $sgpr22
	s_branch .LBB2_105
.LBB2_104:                              ;   in Loop: Header=BB2_105 Depth=3
	s_or_b32 exec_lo, exec_lo, s25
	s_delay_alu instid0(SALU_CYCLE_1) | instskip(NEXT) | instid1(SALU_CYCLE_1)
	s_and_b32 s24, exec_lo, s26
	s_or_b32 s20, s24, s20
	s_and_not1_b32 s21, s21, exec_lo
	s_and_b32 s24, s22, exec_lo
	s_delay_alu instid0(SALU_CYCLE_1)
	s_or_b32 s21, s21, s24
	s_and_not1_b32 exec_lo, exec_lo, s20
	s_cbranch_execz .LBB2_109
.LBB2_105:                              ;   Parent Loop BB2_36 Depth=1
                                        ;     Parent Loop BB2_81 Depth=2
                                        ; =>    This Inner Loop Header: Depth=3
	s_add_co_i32 s23, s23, 1
	s_delay_alu instid0(SALU_CYCLE_1) | instskip(SKIP_1) | instid1(SALU_CYCLE_1)
	s_cmp_lg_u32 s23, 0x2710
	s_cselect_b32 s24, -1, 0
	s_and_b32 vcc_lo, exec_lo, s24
	s_cbranch_vccz .LBB2_107
; %bb.106:                              ;   in Loop: Header=BB2_105 Depth=3
	s_mov_b32 s26, -1
	s_or_b32 s22, s22, exec_lo
	s_and_saveexec_b32 s25, s24
	s_cbranch_execz .LBB2_104
	s_branch .LBB2_108
.LBB2_107:                              ;   in Loop: Header=BB2_105 Depth=3
	s_trap 2
	ds_load_b64 v[16:17], v0
	s_and_not1_b32 s24, s24, exec_lo
	s_mov_b32 s23, 0
	s_wait_loadcnt_dscnt 0x0
	flat_load_b32 v3, v[16:17] scope:SCOPE_SYS
	s_wait_loadcnt_dscnt 0x0
	global_inv scope:SCOPE_SYS
	v_cmp_eq_u32_e32 vcc_lo, 0, v3
	s_and_b32 s25, vcc_lo, exec_lo
	s_delay_alu instid0(SALU_CYCLE_1)
	s_or_b32 s24, s24, s25
	s_mov_b32 s26, -1
	s_or_b32 s22, s22, exec_lo
	s_wait_xcnt 0x0
	s_and_saveexec_b32 s25, s24
	s_cbranch_execz .LBB2_104
.LBB2_108:                              ;   in Loop: Header=BB2_105 Depth=3
	s_sleep 1
	s_trap 2
	ds_load_b64 v[16:17], v0
	s_wait_dscnt 0x0
	s_and_not1_b32 s22, s22, exec_lo
	v_cmp_ge_u64_e32 vcc_lo, v[16:17], v[54:55]
	s_or_not1_b32 s26, vcc_lo, exec_lo
	s_branch .LBB2_104
.LBB2_109:                              ;   in Loop: Header=BB2_81 Depth=2
	s_or_b32 exec_lo, exec_lo, s20
	s_and_saveexec_b32 s20, s21
	s_delay_alu instid0(SALU_CYCLE_1)
	s_xor_b32 s20, exec_lo, s20
	s_cbranch_execz .LBB2_111
; %bb.110:                              ;   in Loop: Header=BB2_81 Depth=2
	ds_store_b32 v0, v60
	s_trap 2
.LBB2_111:                              ;   in Loop: Header=BB2_81 Depth=2
	s_or_b32 exec_lo, exec_lo, s19
	;;#ASMSTART
	s_wakeup
	;;#ASMEND
.LBB2_112:                              ;   in Loop: Header=BB2_81 Depth=2
	s_or_b32 exec_lo, exec_lo, s18
.LBB2_113:                              ;   in Loop: Header=BB2_81 Depth=2
	s_and_not1_saveexec_b32 s10, s10
	s_cbranch_execz .LBB2_115
; %bb.114:                              ;   in Loop: Header=BB2_81 Depth=2
	global_wb scope:SCOPE_DEV
	s_wait_storecnt 0x0
	s_wait_loadcnt_dscnt 0x0
	global_inv scope:SCOPE_DEV
	s_barrier_signal -1
	s_barrier_wait -1
.LBB2_115:                              ;   in Loop: Header=BB2_81 Depth=2
	s_or_b32 exec_lo, exec_lo, s10
.LBB2_116:                              ;   in Loop: Header=BB2_81 Depth=2
	s_delay_alu instid0(SALU_CYCLE_1)
	s_or_b32 exec_lo, exec_lo, s9
	v_dual_mov_b32 v42, v0 :: v_dual_add_nc_u32 v17, 1, v118
	s_and_saveexec_b32 s18, s8
	s_cbranch_execnz .LBB2_123
; %bb.117:                              ;   in Loop: Header=BB2_81 Depth=2
	s_or_b32 exec_lo, exec_lo, s18
	s_and_saveexec_b32 s9, s3
	s_cbranch_execnz .LBB2_140
.LBB2_118:                              ;   in Loop: Header=BB2_81 Depth=2
	s_or_b32 exec_lo, exec_lo, s9
	s_and_saveexec_b32 s9, s6
	s_cbranch_execz .LBB2_120
.LBB2_119:                              ;   in Loop: Header=BB2_81 Depth=2
	v_add_nc_u64_e32 v[48:49], 1, v[48:49]
	global_wb scope:SCOPE_SYS
	s_wait_storecnt 0x0
	s_wait_loadcnt_dscnt 0x0
	flat_store_b64 v[50:51], v[48:49] scope:SCOPE_SYS
.LBB2_120:                              ;   in Loop: Header=BB2_81 Depth=2
	s_wait_xcnt 0x0
	s_or_b32 exec_lo, exec_lo, s9
	s_wait_loadcnt_dscnt 0x0
	v_and_b32_e32 v4, 0x7ffffff8, v118
	v_mov_b32_e32 v5, v2
	v_cmp_gt_i32_e64 s9, s15, v42
	s_delay_alu instid0(VALU_DEP_2) | instskip(SKIP_1) | instid1(SALU_CYCLE_1)
	v_cmp_eq_u64_e32 vcc_lo, 0x7ffffff8, v[4:5]
	s_and_b32 s10, vcc_lo, s9
	s_and_saveexec_b32 s9, s10
	s_cbranch_execz .LBB2_80
; %bb.121:                              ;   in Loop: Header=BB2_81 Depth=2
	v_dual_ashrrev_i32 v43, 31, v42 :: v_dual_bitop2_b32 v3, 7, v115 bitop3:0x40
	s_mov_b32 s10, 0
	s_delay_alu instid0(VALU_DEP_1) | instskip(NEXT) | instid1(VALU_DEP_1)
	v_mul_lo_u32 v4, s15, v3
	v_dual_mov_b32 v3, v17 :: v_dual_ashrrev_i32 v5, 31, v4
	s_delay_alu instid0(VALU_DEP_1) | instskip(NEXT) | instid1(VALU_DEP_1)
	v_lshlrev_b64_e32 v[4:5], 4, v[4:5]
	v_lshl_add_u64 v[4:5], v[42:43], 4, v[4:5]
	s_delay_alu instid0(VALU_DEP_1)
	v_add_nc_u64_e32 v[18:19], v[38:39], v[4:5]
.LBB2_122:                              ;   Parent Loop BB2_36 Depth=1
                                        ;     Parent Loop BB2_81 Depth=2
                                        ; =>    This Inner Loop Header: Depth=3
	s_delay_alu instid0(VALU_DEP_4)
	v_dual_mov_b32 v4, v2 :: v_dual_mov_b32 v5, v3
	v_add_nc_u32_e32 v42, v42, v22
	global_store_b128 v[18:19], v[2:5], off
	v_cmp_le_i32_e32 vcc_lo, s15, v42
	s_wait_xcnt 0x0
	v_add_nc_u64_e32 v[18:19], v[18:19], v[102:103]
	s_or_b32 s10, vcc_lo, s10
	s_delay_alu instid0(SALU_CYCLE_1)
	s_and_not1_b32 exec_lo, exec_lo, s10
	s_cbranch_execnz .LBB2_122
	s_branch .LBB2_80
.LBB2_123:                              ;   in Loop: Header=BB2_81 Depth=2
	s_wait_loadcnt_dscnt 0x0
	v_dual_mov_b32 v72, v61 :: v_dual_ashrrev_i32 v5, 31, v4
	v_dual_mov_b32 v63, v62 :: v_dual_bitop2_b32 v3, 7, v36 bitop3:0x40
	s_mov_b32 s19, 0
	s_delay_alu instid0(VALU_DEP_2) | instskip(SKIP_1) | instid1(VALU_DEP_3)
	v_mul_u64_e32 v[18:19], v[68:69], v[4:5]
	v_and_b32_e32 v5, 7, v118
	v_mul_lo_u32 v4, v3, s15
	v_dual_mov_b32 v42, v0 :: v_dual_add_nc_u32 v3, 1, v36
	s_delay_alu instid0(VALU_DEP_3) | instskip(NEXT) | instid1(VALU_DEP_3)
	v_mul_lo_u32 v20, v5, s15
	v_ashrrev_i32_e32 v5, 31, v4
	s_delay_alu instid0(VALU_DEP_2) | instskip(NEXT) | instid1(VALU_DEP_2)
	v_ashrrev_i32_e32 v21, 31, v20
	v_lshl_add_u64 v[4:5], v[4:5], 4, v[34:35]
	s_delay_alu instid0(VALU_DEP_2)
	v_lshl_add_u64 v[44:45], v[20:21], 4, v[38:39]
	v_lshl_add_u64 v[46:47], v[18:19], 3, v[40:41]
	s_branch .LBB2_127
.LBB2_124:                              ;   in Loop: Header=BB2_127 Depth=3
	s_or_b32 exec_lo, exec_lo, s9
.LBB2_125:                              ;   in Loop: Header=BB2_127 Depth=3
	s_delay_alu instid0(SALU_CYCLE_1)
	s_or_b32 exec_lo, exec_lo, s21
.LBB2_126:                              ;   in Loop: Header=BB2_127 Depth=3
	s_delay_alu instid0(SALU_CYCLE_1)
	s_or_b32 exec_lo, exec_lo, s20
	s_wait_loadcnt 0x0
	v_dual_mov_b32 v19, v20 :: v_dual_sub_nc_u32 v63, v63, v22
	v_lshl_add_u64 v[46:47], v[22:23], 3, v[46:47]
	v_lshl_add_u64 v[20:21], v[42:43], 4, v[44:45]
	v_add_nc_u32_e32 v42, v42, v22
	s_delay_alu instid0(VALU_DEP_4) | instskip(SKIP_2) | instid1(VALU_DEP_2)
	v_mul_f64_e32 v[18:19], v[56:57], v[18:19]
	v_cmp_gt_i32_e32 vcc_lo, 1, v63
	s_or_b32 s19, vcc_lo, s19
	v_dual_mov_b32 v16, v18 :: v_dual_mov_b32 v18, v19
	v_mov_b32_e32 v19, v17
	global_store_b128 v[20:21], v[16:19], off
	s_wait_xcnt 0x0
	s_and_not1_b32 exec_lo, exec_lo, s19
	s_cbranch_execz .LBB2_139
.LBB2_127:                              ;   Parent Loop BB2_36 Depth=1
                                        ;     Parent Loop BB2_81 Depth=2
                                        ; =>    This Loop Header: Depth=3
                                        ;         Child Loop BB2_132 Depth 4
	v_ashrrev_i32_e32 v43, 31, v42
	s_mov_b32 s20, exec_lo
	s_delay_alu instid0(VALU_DEP_1)
	v_lshl_add_u64 v[58:59], v[42:43], 4, v[4:5]
	global_load_b64 v[56:57], v[46:47], off th:TH_LOAD_NT
	global_load_b128 v[18:21], v[58:59], off th:TH_LOAD_NT
	s_wait_xcnt 0x0
	v_cmpx_eq_u32_e32 0, v72
	s_cbranch_execz .LBB2_126
; %bb.128:                              ;   in Loop: Header=BB2_127 Depth=3
	s_wait_loadcnt 0x0
	v_cmp_ne_u32_e32 vcc_lo, v3, v19
	v_cmp_ne_u32_e64 s9, v3, v21
	v_mov_b32_e32 v72, 0
	s_or_b32 s9, vcc_lo, s9
	s_delay_alu instid0(SALU_CYCLE_1)
	s_and_saveexec_b32 s21, s9
	s_cbranch_execz .LBB2_125
; %bb.129:                              ;   in Loop: Header=BB2_127 Depth=3
	v_cmp_eq_u32_e64 s9, 0, v61
	v_mov_b32_e32 v72, 0
	s_mov_b32 s22, 0
	s_mov_b32 s25, 1
                                        ; implicit-def: $sgpr23
                                        ; implicit-def: $sgpr24
	s_branch .LBB2_132
.LBB2_130:                              ;   in Loop: Header=BB2_132 Depth=4
	s_or_b32 exec_lo, exec_lo, s26
	s_delay_alu instid0(SALU_CYCLE_1)
	s_and_not1_b32 s24, s24, exec_lo
	s_or_not1_b32 s10, s10, exec_lo
.LBB2_131:                              ;   in Loop: Header=BB2_132 Depth=4
	s_or_b32 exec_lo, exec_lo, s28
	s_delay_alu instid0(SALU_CYCLE_1) | instskip(NEXT) | instid1(SALU_CYCLE_1)
	s_and_b32 s10, exec_lo, s10
	s_or_b32 s22, s10, s22
	s_and_not1_b32 s10, s23, exec_lo
	s_and_b32 s23, s24, exec_lo
	s_delay_alu instid0(SALU_CYCLE_1)
	s_or_b32 s23, s10, s23
	s_and_not1_b32 exec_lo, exec_lo, s22
	s_cbranch_execz .LBB2_137
.LBB2_132:                              ;   Parent Loop BB2_36 Depth=1
                                        ;     Parent Loop BB2_81 Depth=2
                                        ;       Parent Loop BB2_127 Depth=3
                                        ; =>      This Inner Loop Header: Depth=4
	s_wait_loadcnt 0x0
	global_load_b128 v[18:21], v[58:59], off th:TH_LOAD_NT
	s_add_co_i32 s25, s25, 1
	s_mov_b32 s10, -1
	s_cmp_lg_u32 s25, 0x2710
	s_mov_b32 s27, -1
	s_cselect_b32 s26, -1, 0
                                        ; implicit-def: $vgpr16
	s_delay_alu instid0(SALU_CYCLE_1)
	s_and_b32 vcc_lo, exec_lo, s26
	s_cbranch_vccz .LBB2_134
; %bb.133:                              ;   in Loop: Header=BB2_132 Depth=4
	s_or_b32 s24, s24, exec_lo
	s_wait_xcnt 0x0
	s_and_saveexec_b32 s28, s26
	s_cbranch_execz .LBB2_131
	s_branch .LBB2_135
.LBB2_134:                              ;   in Loop: Header=BB2_132 Depth=4
	s_trap 2
	ds_load_b64 v[72:73], v0
	s_and_not1_b32 s26, s26, exec_lo
	s_mov_b32 s25, 0
	s_or_not1_b32 s27, s9, exec_lo
	s_wait_storecnt 0x0
	s_wait_loadcnt_dscnt 0x0
	flat_load_b32 v16, v[72:73] scope:SCOPE_SYS
	s_wait_loadcnt_dscnt 0x0
	global_inv scope:SCOPE_SYS
	s_wait_xcnt 0x0
	v_mov_b32_e32 v72, v61
	v_cmp_eq_u32_e32 vcc_lo, 0, v16
	s_and_b32 s28, vcc_lo, exec_lo
	s_delay_alu instid0(SALU_CYCLE_1)
	s_or_b32 s26, s26, s28
	s_or_b32 s24, s24, exec_lo
	s_and_saveexec_b32 s28, s26
	s_cbranch_execz .LBB2_131
.LBB2_135:                              ;   in Loop: Header=BB2_132 Depth=4
	s_and_saveexec_b32 s26, s27
	s_cbranch_execz .LBB2_130
; %bb.136:                              ;   in Loop: Header=BB2_132 Depth=4
	s_wait_loadcnt 0x0
	v_cmp_eq_u32_e32 vcc_lo, v3, v19
	v_cmp_eq_u32_e64 s10, v3, v21
	s_and_b32 s10, vcc_lo, s10
	s_delay_alu instid0(SALU_CYCLE_1)
	s_or_not1_b32 s10, s10, exec_lo
	s_branch .LBB2_130
.LBB2_137:                              ;   in Loop: Header=BB2_127 Depth=3
	s_or_b32 exec_lo, exec_lo, s22
	s_and_saveexec_b32 s9, s23
	s_delay_alu instid0(SALU_CYCLE_1)
	s_xor_b32 s9, exec_lo, s9
	s_cbranch_execz .LBB2_124
; %bb.138:                              ;   in Loop: Header=BB2_127 Depth=3
	v_or_b32_e32 v72, 1, v61
	s_wait_loadcnt 0x0
	s_wait_storecnt 0x0
	ds_store_b32 v0, v16
	s_trap 2
	v_mov_b32_e32 v61, v72
	s_branch .LBB2_124
.LBB2_139:                              ;   in Loop: Header=BB2_81 Depth=2
	s_or_b32 exec_lo, exec_lo, s19
	s_delay_alu instid0(SALU_CYCLE_1)
	s_or_b32 exec_lo, exec_lo, s18
	s_and_saveexec_b32 s9, s3
	s_cbranch_execz .LBB2_118
.LBB2_140:                              ;   in Loop: Header=BB2_81 Depth=2
	s_and_saveexec_b32 s10, s4
	s_delay_alu instid0(SALU_CYCLE_1)
	s_xor_b32 s10, exec_lo, s10
	s_cbranch_execz .LBB2_155
; %bb.141:                              ;   in Loop: Header=BB2_81 Depth=2
	s_and_saveexec_b32 s18, s5
	s_cbranch_execz .LBB2_154
; %bb.142:                              ;   in Loop: Header=BB2_81 Depth=2
	s_mov_b32 s20, exec_lo
	s_mov_b32 s19, exec_lo
	v_mbcnt_lo_u32_b32 v3, s20, 0
	global_wb scope:SCOPE_DEV
	s_wait_storecnt 0x0
	s_wait_loadcnt_dscnt 0x0
	global_inv scope:SCOPE_DEV
	v_cmpx_eq_u32_e32 0, v3
	s_cbranch_execz .LBB2_144
; %bb.143:                              ;   in Loop: Header=BB2_81 Depth=2
	s_bcnt1_i32_b32 s20, s20
	s_delay_alu instid0(SALU_CYCLE_1)
	v_dual_mov_b32 v5, v2 :: v_dual_mov_b32 v4, s20
	s_wait_loadcnt 0x0
	ds_add_u64 v0, v[4:5]
	s_trap 2
.LBB2_144:                              ;   in Loop: Header=BB2_81 Depth=2
	s_or_b32 exec_lo, exec_lo, s19
	s_trap 2
	ds_load_b64 v[4:5], v0
	s_wait_dscnt 0x0
	v_add_nc_u64_e32 v[54:55], v[54:55], v[82:83]
	s_mov_b32 s19, exec_lo
	s_delay_alu instid0(VALU_DEP_1)
	v_cmpx_lt_u64_e64 v[4:5], v[54:55]
	s_cbranch_execz .LBB2_153
; %bb.145:                              ;   in Loop: Header=BB2_81 Depth=2
	s_mov_b32 s20, 0
	s_mov_b32 s23, 0
                                        ; implicit-def: $sgpr21
                                        ; implicit-def: $sgpr22
	s_branch .LBB2_147
.LBB2_146:                              ;   in Loop: Header=BB2_147 Depth=3
	s_or_b32 exec_lo, exec_lo, s25
	s_delay_alu instid0(SALU_CYCLE_1) | instskip(NEXT) | instid1(SALU_CYCLE_1)
	s_and_b32 s24, exec_lo, s26
	s_or_b32 s20, s24, s20
	s_and_not1_b32 s21, s21, exec_lo
	s_and_b32 s24, s22, exec_lo
	s_delay_alu instid0(SALU_CYCLE_1)
	s_or_b32 s21, s21, s24
	s_and_not1_b32 exec_lo, exec_lo, s20
	s_cbranch_execz .LBB2_151
.LBB2_147:                              ;   Parent Loop BB2_36 Depth=1
                                        ;     Parent Loop BB2_81 Depth=2
                                        ; =>    This Inner Loop Header: Depth=3
	s_add_co_i32 s23, s23, 1
	s_delay_alu instid0(SALU_CYCLE_1) | instskip(SKIP_1) | instid1(SALU_CYCLE_1)
	s_cmp_lg_u32 s23, 0x2710
	s_cselect_b32 s24, -1, 0
	s_and_b32 vcc_lo, exec_lo, s24
	s_cbranch_vccz .LBB2_149
; %bb.148:                              ;   in Loop: Header=BB2_147 Depth=3
	s_mov_b32 s26, -1
	s_or_b32 s22, s22, exec_lo
	s_and_saveexec_b32 s25, s24
	s_cbranch_execz .LBB2_146
	s_branch .LBB2_150
.LBB2_149:                              ;   in Loop: Header=BB2_147 Depth=3
	s_trap 2
	ds_load_b64 v[4:5], v0
	s_and_not1_b32 s24, s24, exec_lo
	s_mov_b32 s23, 0
	s_wait_loadcnt_dscnt 0x0
	flat_load_b32 v3, v[4:5] scope:SCOPE_SYS
	s_wait_loadcnt_dscnt 0x0
	global_inv scope:SCOPE_SYS
	v_cmp_eq_u32_e32 vcc_lo, 0, v3
	s_and_b32 s25, vcc_lo, exec_lo
	s_delay_alu instid0(SALU_CYCLE_1)
	s_or_b32 s24, s24, s25
	s_mov_b32 s26, -1
	s_or_b32 s22, s22, exec_lo
	s_wait_xcnt 0x0
	s_and_saveexec_b32 s25, s24
	s_cbranch_execz .LBB2_146
.LBB2_150:                              ;   in Loop: Header=BB2_147 Depth=3
	s_sleep 1
	s_trap 2
	ds_load_b64 v[4:5], v0
	s_wait_dscnt 0x0
	s_and_not1_b32 s22, s22, exec_lo
	v_cmp_ge_u64_e32 vcc_lo, v[4:5], v[54:55]
	s_or_not1_b32 s26, vcc_lo, exec_lo
	s_branch .LBB2_146
.LBB2_151:                              ;   in Loop: Header=BB2_81 Depth=2
	s_or_b32 exec_lo, exec_lo, s20
	s_and_saveexec_b32 s20, s21
	s_delay_alu instid0(SALU_CYCLE_1)
	s_xor_b32 s20, exec_lo, s20
	s_cbranch_execz .LBB2_153
; %bb.152:                              ;   in Loop: Header=BB2_81 Depth=2
	ds_store_b32 v0, v60
	s_trap 2
.LBB2_153:                              ;   in Loop: Header=BB2_81 Depth=2
	s_or_b32 exec_lo, exec_lo, s19
	;;#ASMSTART
	s_wakeup
	;;#ASMEND
.LBB2_154:                              ;   in Loop: Header=BB2_81 Depth=2
	s_or_b32 exec_lo, exec_lo, s18
.LBB2_155:                              ;   in Loop: Header=BB2_81 Depth=2
	s_and_not1_saveexec_b32 s10, s10
	s_cbranch_execz .LBB2_157
; %bb.156:                              ;   in Loop: Header=BB2_81 Depth=2
	global_wb scope:SCOPE_DEV
	s_wait_storecnt 0x0
	s_wait_loadcnt_dscnt 0x0
	global_inv scope:SCOPE_DEV
	s_barrier_signal -1
	s_barrier_wait -1
.LBB2_157:                              ;   in Loop: Header=BB2_81 Depth=2
	s_or_b32 exec_lo, exec_lo, s10
	s_delay_alu instid0(SALU_CYCLE_1)
	s_or_b32 exec_lo, exec_lo, s9
	s_and_saveexec_b32 s9, s6
	s_cbranch_execnz .LBB2_119
	s_branch .LBB2_120
.LBB2_158:                              ;   in Loop: Header=BB2_36 Depth=1
	s_delay_alu instid0(VALU_DEP_1)
	v_mov_b64_e32 v[20:21], v[118:119]
	s_and_saveexec_b32 s10, s8
	s_cbranch_execnz .LBB2_161
; %bb.159:                              ;   in Loop: Header=BB2_36 Depth=1
	s_or_b32 exec_lo, exec_lo, s10
	s_and_saveexec_b32 s8, s3
	s_cbranch_execnz .LBB2_182
.LBB2_160:                              ;   in Loop: Header=BB2_36 Depth=1
	s_or_b32 exec_lo, exec_lo, s8
	s_and_saveexec_b32 s8, s6
	s_cbranch_execz .LBB2_35
	s_branch .LBB2_200
.LBB2_161:                              ;   in Loop: Header=BB2_36 Depth=1
	flat_load_b32 v4, v[24:25]
	s_wait_loadcnt_dscnt 0x101
	v_dual_mov_b32 v44, v61 :: v_dual_bitop2_b32 v3, 7, v36 bitop3:0x40
	v_lshlrev_b64_e32 v[16:17], 3, v[116:117]
	s_mov_b32 s17, 0
	v_mov_b32_e32 v118, v0
	s_delay_alu instid0(VALU_DEP_3) | instskip(SKIP_1) | instid1(VALU_DEP_4)
	v_mul_lo_u32 v18, v3, s15
	v_add_nc_u32_e32 v3, 1, v36
	v_add_nc_u64_e32 v[114:115], v[10:11], v[16:17]
	s_wait_loadcnt_dscnt 0x0
	s_delay_alu instid0(VALU_DEP_3) | instskip(NEXT) | instid1(VALU_DEP_1)
	v_dual_ashrrev_i32 v19, 31, v18 :: v_dual_ashrrev_i32 v5, 31, v4
	v_mul_u64_e32 v[4:5], v[68:69], v[4:5]
	s_delay_alu instid0(VALU_DEP_1) | instskip(SKIP_1) | instid1(VALU_DEP_4)
	v_lshl_add_u64 v[116:117], v[4:5], 3, v[114:115]
	v_add_nc_u64_e32 v[4:5], v[8:9], v[16:17]
	v_lshl_add_u64 v[114:115], v[18:19], 4, v[34:35]
	s_delay_alu instid0(VALU_DEP_3)
	v_lshl_add_u64 v[116:117], v[0:1], 3, v[116:117]
	s_branch .LBB2_163
.LBB2_162:                              ;   in Loop: Header=BB2_163 Depth=2
	v_sub_nc_u32_e32 v62, v62, v22
	v_add_nc_u64_e32 v[116:117], v[116:117], v[100:101]
	s_wait_xcnt 0x0
	v_add_nc_u64_e32 v[4:5], v[4:5], v[100:101]
	v_add_nc_u32_e32 v118, v118, v22
	v_cmp_gt_i32_e32 vcc_lo, 1, v62
	s_or_b32 s17, vcc_lo, s17
	s_delay_alu instid0(SALU_CYCLE_1)
	s_and_not1_b32 exec_lo, exec_lo, s17
	s_cbranch_execz .LBB2_181
.LBB2_163:                              ;   Parent Loop BB2_36 Depth=1
                                        ; =>  This Loop Header: Depth=2
                                        ;       Child Loop BB2_168 Depth 3
	v_ashrrev_i32_e32 v119, 31, v118
	s_mov_b32 s18, exec_lo
	s_delay_alu instid0(VALU_DEP_1)
	v_lshl_add_u64 v[42:43], v[118:119], 4, v[114:115]
	global_load_b64 v[40:41], v[116:117], off th:TH_LOAD_NT
	global_load_b128 v[16:19], v[42:43], off th:TH_LOAD_NT
	s_wait_xcnt 0x0
	v_cmpx_eq_u32_e32 0, v44
	s_cbranch_execz .LBB2_177
; %bb.164:                              ;   in Loop: Header=BB2_163 Depth=2
	s_wait_loadcnt 0x0
	v_cmp_ne_u32_e32 vcc_lo, v3, v17
	v_cmp_ne_u32_e64 s8, v3, v19
	v_mov_b32_e32 v44, 0
	s_or_b32 s8, vcc_lo, s8
	s_delay_alu instid0(SALU_CYCLE_1)
	s_and_saveexec_b32 s19, s8
	s_cbranch_execz .LBB2_176
; %bb.165:                              ;   in Loop: Header=BB2_163 Depth=2
	v_cmp_eq_u32_e64 s8, 0, v61
	v_mov_b32_e32 v44, 0
	s_mov_b32 s20, 0
	s_mov_b32 s23, 1
                                        ; implicit-def: $sgpr21
                                        ; implicit-def: $sgpr22
	s_branch .LBB2_168
.LBB2_166:                              ;   in Loop: Header=BB2_168 Depth=3
	s_or_b32 exec_lo, exec_lo, s24
	s_delay_alu instid0(SALU_CYCLE_1)
	s_and_not1_b32 s22, s22, exec_lo
	s_or_not1_b32 s9, s9, exec_lo
.LBB2_167:                              ;   in Loop: Header=BB2_168 Depth=3
	s_or_b32 exec_lo, exec_lo, s26
	s_delay_alu instid0(SALU_CYCLE_1) | instskip(NEXT) | instid1(SALU_CYCLE_1)
	s_and_b32 s9, exec_lo, s9
	s_or_b32 s20, s9, s20
	s_and_not1_b32 s9, s21, exec_lo
	s_and_b32 s21, s22, exec_lo
	s_delay_alu instid0(SALU_CYCLE_1)
	s_or_b32 s21, s9, s21
	s_and_not1_b32 exec_lo, exec_lo, s20
	s_cbranch_execz .LBB2_173
.LBB2_168:                              ;   Parent Loop BB2_36 Depth=1
                                        ;     Parent Loop BB2_163 Depth=2
                                        ; =>    This Inner Loop Header: Depth=3
	s_wait_loadcnt 0x0
	global_load_b128 v[16:19], v[42:43], off th:TH_LOAD_NT
	s_add_co_i32 s23, s23, 1
	s_mov_b32 s9, -1
	s_cmp_lg_u32 s23, 0x2710
	s_mov_b32 s25, -1
	s_cselect_b32 s24, -1, 0
                                        ; implicit-def: $vgpr119
	s_delay_alu instid0(SALU_CYCLE_1)
	s_and_b32 vcc_lo, exec_lo, s24
	s_cbranch_vccz .LBB2_170
; %bb.169:                              ;   in Loop: Header=BB2_168 Depth=3
	s_or_b32 s22, s22, exec_lo
	s_wait_xcnt 0x0
	s_and_saveexec_b32 s26, s24
	s_cbranch_execz .LBB2_167
	s_branch .LBB2_171
.LBB2_170:                              ;   in Loop: Header=BB2_168 Depth=3
	s_trap 2
	ds_load_b64 v[44:45], v0
	s_and_not1_b32 s24, s24, exec_lo
	s_mov_b32 s23, 0
	s_or_not1_b32 s25, s8, exec_lo
	s_wait_storecnt 0x0
	s_wait_loadcnt_dscnt 0x0
	flat_load_b32 v119, v[44:45] scope:SCOPE_SYS
	s_wait_loadcnt_dscnt 0x0
	global_inv scope:SCOPE_SYS
	s_wait_xcnt 0x0
	v_mov_b32_e32 v44, v61
	v_cmp_eq_u32_e32 vcc_lo, 0, v119
	s_and_b32 s26, vcc_lo, exec_lo
	s_delay_alu instid0(SALU_CYCLE_1)
	s_or_b32 s24, s24, s26
	s_or_b32 s22, s22, exec_lo
	s_and_saveexec_b32 s26, s24
	s_cbranch_execz .LBB2_167
.LBB2_171:                              ;   in Loop: Header=BB2_168 Depth=3
	s_and_saveexec_b32 s24, s25
	s_cbranch_execz .LBB2_166
; %bb.172:                              ;   in Loop: Header=BB2_168 Depth=3
	s_wait_loadcnt 0x0
	v_cmp_eq_u32_e32 vcc_lo, v3, v17
	v_cmp_eq_u32_e64 s9, v3, v19
	s_and_b32 s9, vcc_lo, s9
	s_delay_alu instid0(SALU_CYCLE_1)
	s_or_not1_b32 s9, s9, exec_lo
	s_branch .LBB2_166
.LBB2_173:                              ;   in Loop: Header=BB2_163 Depth=2
	s_or_b32 exec_lo, exec_lo, s20
	s_and_saveexec_b32 s8, s21
	s_delay_alu instid0(SALU_CYCLE_1)
	s_xor_b32 s8, exec_lo, s8
	s_cbranch_execz .LBB2_175
; %bb.174:                              ;   in Loop: Header=BB2_163 Depth=2
	v_or_b32_e32 v44, 1, v61
	s_wait_loadcnt 0x0
	s_wait_storecnt 0x0
	ds_store_b32 v0, v119
	s_trap 2
	v_mov_b32_e32 v61, v44
.LBB2_175:                              ;   in Loop: Header=BB2_163 Depth=2
	s_or_b32 exec_lo, exec_lo, s8
.LBB2_176:                              ;   in Loop: Header=BB2_163 Depth=2
	s_delay_alu instid0(SALU_CYCLE_1)
	s_or_b32 exec_lo, exec_lo, s19
.LBB2_177:                              ;   in Loop: Header=BB2_163 Depth=2
	s_delay_alu instid0(SALU_CYCLE_1) | instskip(SKIP_4) | instid1(VALU_DEP_2)
	s_or_b32 exec_lo, exec_lo, s18
	s_wait_loadcnt 0x0
	v_mov_b32_e32 v17, v18
	v_cndmask_b32_e64 v18, 0, 1, s7
	s_mov_b32 s8, -1
	v_mul_f64_e32 v[16:17], v[40:41], v[16:17]
	s_delay_alu instid0(VALU_DEP_2)
	v_cmp_ne_u32_e32 vcc_lo, 0, v18
	s_cmp_eq_u32 vcc_lo, exec_lo
	s_cbranch_scc1 .LBB2_179
; %bb.178:                              ;   in Loop: Header=BB2_163 Depth=2
	s_mov_b32 s8, 0
	flat_store_b64 v[4:5], v[16:17]
.LBB2_179:                              ;   in Loop: Header=BB2_163 Depth=2
	s_and_not1_b32 vcc_lo, exec_lo, s8
	s_cbranch_vccnz .LBB2_162
; %bb.180:                              ;   in Loop: Header=BB2_163 Depth=2
	global_store_b64 v[4:5], v[16:17], off
	s_branch .LBB2_162
.LBB2_181:                              ;   in Loop: Header=BB2_36 Depth=1
	s_or_b32 exec_lo, exec_lo, s17
	s_delay_alu instid0(SALU_CYCLE_1)
	s_or_b32 exec_lo, exec_lo, s10
	s_and_saveexec_b32 s8, s3
	s_cbranch_execz .LBB2_160
.LBB2_182:                              ;   in Loop: Header=BB2_36 Depth=1
	s_and_saveexec_b32 s9, s4
	s_delay_alu instid0(SALU_CYCLE_1)
	s_xor_b32 s9, exec_lo, s9
	s_cbranch_execz .LBB2_197
; %bb.183:                              ;   in Loop: Header=BB2_36 Depth=1
	s_and_saveexec_b32 s10, s5
	s_cbranch_execz .LBB2_196
; %bb.184:                              ;   in Loop: Header=BB2_36 Depth=1
	s_mov_b32 s18, exec_lo
	s_mov_b32 s17, exec_lo
	s_wait_loadcnt_dscnt 0x0
	v_mbcnt_lo_u32_b32 v3, s18, 0
	global_wb scope:SCOPE_DEV
	s_wait_storecnt 0x0
	global_inv scope:SCOPE_DEV
	v_cmpx_eq_u32_e32 0, v3
	s_cbranch_execz .LBB2_186
; %bb.185:                              ;   in Loop: Header=BB2_36 Depth=1
	s_bcnt1_i32_b32 s18, s18
	s_delay_alu instid0(SALU_CYCLE_1)
	v_dual_mov_b32 v5, v2 :: v_dual_mov_b32 v4, s18
	s_wait_loadcnt 0x0
	ds_add_u64 v0, v[4:5]
	s_trap 2
.LBB2_186:                              ;   in Loop: Header=BB2_36 Depth=1
	s_or_b32 exec_lo, exec_lo, s17
	s_trap 2
	ds_load_b64 v[4:5], v0
	s_wait_dscnt 0x0
	v_add_nc_u64_e32 v[54:55], v[54:55], v[82:83]
	s_mov_b32 s17, exec_lo
	s_delay_alu instid0(VALU_DEP_1)
	v_cmpx_lt_u64_e64 v[4:5], v[54:55]
	s_cbranch_execz .LBB2_195
; %bb.187:                              ;   in Loop: Header=BB2_36 Depth=1
	s_mov_b32 s18, 0
	s_mov_b32 s21, 0
                                        ; implicit-def: $sgpr19
                                        ; implicit-def: $sgpr20
	s_branch .LBB2_189
.LBB2_188:                              ;   in Loop: Header=BB2_189 Depth=2
	s_or_b32 exec_lo, exec_lo, s23
	s_delay_alu instid0(SALU_CYCLE_1) | instskip(NEXT) | instid1(SALU_CYCLE_1)
	s_and_b32 s22, exec_lo, s24
	s_or_b32 s18, s22, s18
	s_and_not1_b32 s19, s19, exec_lo
	s_and_b32 s22, s20, exec_lo
	s_delay_alu instid0(SALU_CYCLE_1)
	s_or_b32 s19, s19, s22
	s_and_not1_b32 exec_lo, exec_lo, s18
	s_cbranch_execz .LBB2_193
.LBB2_189:                              ;   Parent Loop BB2_36 Depth=1
                                        ; =>  This Inner Loop Header: Depth=2
	s_add_co_i32 s21, s21, 1
	s_delay_alu instid0(SALU_CYCLE_1) | instskip(SKIP_1) | instid1(SALU_CYCLE_1)
	s_cmp_lg_u32 s21, 0x2710
	s_cselect_b32 s22, -1, 0
	s_and_b32 vcc_lo, exec_lo, s22
	s_cbranch_vccz .LBB2_191
; %bb.190:                              ;   in Loop: Header=BB2_189 Depth=2
	s_mov_b32 s24, -1
	s_or_b32 s20, s20, exec_lo
	s_and_saveexec_b32 s23, s22
	s_cbranch_execz .LBB2_188
	s_branch .LBB2_192
.LBB2_191:                              ;   in Loop: Header=BB2_189 Depth=2
	s_trap 2
	ds_load_b64 v[4:5], v0
	s_and_not1_b32 s22, s22, exec_lo
	s_mov_b32 s21, 0
	s_wait_loadcnt_dscnt 0x0
	flat_load_b32 v3, v[4:5] scope:SCOPE_SYS
	s_wait_loadcnt_dscnt 0x0
	global_inv scope:SCOPE_SYS
	v_cmp_eq_u32_e32 vcc_lo, 0, v3
	s_and_b32 s23, vcc_lo, exec_lo
	s_delay_alu instid0(SALU_CYCLE_1)
	s_or_b32 s22, s22, s23
	s_mov_b32 s24, -1
	s_or_b32 s20, s20, exec_lo
	s_and_saveexec_b32 s23, s22
	s_cbranch_execz .LBB2_188
.LBB2_192:                              ;   in Loop: Header=BB2_189 Depth=2
	s_sleep 1
	s_trap 2
	ds_load_b64 v[4:5], v0
	s_wait_dscnt 0x0
	s_and_not1_b32 s20, s20, exec_lo
	v_cmp_ge_u64_e32 vcc_lo, v[4:5], v[54:55]
	s_or_not1_b32 s24, vcc_lo, exec_lo
	s_branch .LBB2_188
.LBB2_193:                              ;   in Loop: Header=BB2_36 Depth=1
	s_or_b32 exec_lo, exec_lo, s18
	s_and_saveexec_b32 s18, s19
	s_delay_alu instid0(SALU_CYCLE_1)
	s_xor_b32 s18, exec_lo, s18
	s_cbranch_execz .LBB2_195
; %bb.194:                              ;   in Loop: Header=BB2_36 Depth=1
	ds_store_b32 v0, v60
	s_trap 2
.LBB2_195:                              ;   in Loop: Header=BB2_36 Depth=1
	s_or_b32 exec_lo, exec_lo, s17
	;;#ASMSTART
	s_wakeup
	;;#ASMEND
.LBB2_196:                              ;   in Loop: Header=BB2_36 Depth=1
	s_or_b32 exec_lo, exec_lo, s10
.LBB2_197:                              ;   in Loop: Header=BB2_36 Depth=1
	s_and_not1_saveexec_b32 s9, s9
	s_cbranch_execz .LBB2_199
; %bb.198:                              ;   in Loop: Header=BB2_36 Depth=1
	global_wb scope:SCOPE_DEV
	s_wait_storecnt 0x0
	s_wait_loadcnt_dscnt 0x0
	global_inv scope:SCOPE_DEV
	s_barrier_signal -1
	s_barrier_wait -1
.LBB2_199:                              ;   in Loop: Header=BB2_36 Depth=1
	s_or_b32 exec_lo, exec_lo, s9
	s_delay_alu instid0(SALU_CYCLE_1)
	s_or_b32 exec_lo, exec_lo, s8
	s_and_saveexec_b32 s8, s6
	s_cbranch_execz .LBB2_35
.LBB2_200:                              ;   in Loop: Header=BB2_36 Depth=1
	v_add_nc_u64_e32 v[48:49], 1, v[48:49]
	global_wb scope:SCOPE_SYS
	s_wait_storecnt 0x0
	s_wait_loadcnt_dscnt 0x0
	flat_store_b64 v[50:51], v[48:49] scope:SCOPE_SYS
	s_branch .LBB2_35
.LBB2_201:
	s_or_b32 exec_lo, exec_lo, s13
	s_delay_alu instid0(SALU_CYCLE_1)
	s_or_b32 exec_lo, exec_lo, s14
	s_and_saveexec_b32 s1, s11
	s_cbranch_execz .LBB2_20
.LBB2_202:
	s_wait_dscnt 0x0
	flat_store_b64 v[32:33], v[48:49] offset:104
	s_wait_xcnt 0x0
	s_or_b32 exec_lo, exec_lo, s1
	s_and_saveexec_b32 s1, s0
	s_cbranch_execnz .LBB2_21
	s_branch .LBB2_22
.LBB2_203:
	s_or_b32 exec_lo, exec_lo, s4
	s_and_saveexec_b32 s4, s5
	s_delay_alu instid0(SALU_CYCLE_1)
	s_xor_b32 s4, exec_lo, s4
	s_cbranch_execz .LBB2_205
; %bb.204:
	v_mov_b32_e32 v0, 1
	ds_store_b32 v0, v0
	s_trap 2
.LBB2_205:
	s_or_b32 exec_lo, exec_lo, s3
	;;#ASMSTART
	s_wakeup
	;;#ASMEND
.LBB2_206:
	s_or_b32 exec_lo, exec_lo, s2
.LBB2_207:
	s_and_not1_saveexec_b32 s1, s1
	s_cbranch_execz .LBB2_209
; %bb.208:
	global_wb scope:SCOPE_DEV
	s_wait_storecnt 0x0
	s_wait_loadcnt_dscnt 0x0
	global_inv scope:SCOPE_DEV
	s_barrier_signal -1
	s_barrier_wait -1
.LBB2_209:
	s_or_b32 exec_lo, exec_lo, s0
	s_clause 0x11
	scratch_load_b32 v73, off, s32
	scratch_load_b32 v72, off, s32 offset:4
	scratch_load_b32 v63, off, s32 offset:8
	;; [unrolled: 1-line block ×17, first 2 shown]
	s_wait_loadcnt_dscnt 0x0
	s_set_pc_i64 s[30:31]
.Lfunc_end2:
	.size	_ZN12_GLOBAL__N_17runRingId8FuncProdIdE7ProtoLLLi0ELi2ELi0EEEviiP15ncclDevWorkColl, .Lfunc_end2-_ZN12_GLOBAL__N_17runRingId8FuncProdIdE7ProtoLLLi0ELi2ELi0EEEviiP15ncclDevWorkColl
                                        ; -- End function
	.set .L_ZN12_GLOBAL__N_17runRingId8FuncProdIdE7ProtoLLLi0ELi2ELi0EEEviiP15ncclDevWorkColl.num_vgpr, 120
	.set .L_ZN12_GLOBAL__N_17runRingId8FuncProdIdE7ProtoLLLi0ELi2ELi0EEEviiP15ncclDevWorkColl.num_agpr, 0
	.set .L_ZN12_GLOBAL__N_17runRingId8FuncProdIdE7ProtoLLLi0ELi2ELi0EEEviiP15ncclDevWorkColl.numbered_sgpr, 33
	.set .L_ZN12_GLOBAL__N_17runRingId8FuncProdIdE7ProtoLLLi0ELi2ELi0EEEviiP15ncclDevWorkColl.num_named_barrier, 0
	.set .L_ZN12_GLOBAL__N_17runRingId8FuncProdIdE7ProtoLLLi0ELi2ELi0EEEviiP15ncclDevWorkColl.private_seg_size, 76
	.set .L_ZN12_GLOBAL__N_17runRingId8FuncProdIdE7ProtoLLLi0ELi2ELi0EEEviiP15ncclDevWorkColl.uses_vcc, 1
	.set .L_ZN12_GLOBAL__N_17runRingId8FuncProdIdE7ProtoLLLi0ELi2ELi0EEEviiP15ncclDevWorkColl.uses_flat_scratch, 1
	.set .L_ZN12_GLOBAL__N_17runRingId8FuncProdIdE7ProtoLLLi0ELi2ELi0EEEviiP15ncclDevWorkColl.has_dyn_sized_stack, 0
	.set .L_ZN12_GLOBAL__N_17runRingId8FuncProdIdE7ProtoLLLi0ELi2ELi0EEEviiP15ncclDevWorkColl.has_recursion, 0
	.set .L_ZN12_GLOBAL__N_17runRingId8FuncProdIdE7ProtoLLLi0ELi2ELi0EEEviiP15ncclDevWorkColl.has_indirect_call, 0
	.section	.AMDGPU.csdata,"",@progbits
; Function info:
; codeLenInByte = 7652
; TotalNumSgprs: 35
; NumVgprs: 120
; ScratchSize: 76
; MemoryBound: 0
	.text
	.p2align	2                               ; -- Begin function _Z48ncclDevFunc_ReduceScatter_RING_LL_Prod_f64_0_0_2v
	.type	_Z48ncclDevFunc_ReduceScatter_RING_LL_Prod_f64_0_0_2v,@function
_Z48ncclDevFunc_ReduceScatter_RING_LL_Prod_f64_0_0_2v: ; @_Z48ncclDevFunc_ReduceScatter_RING_LL_Prod_f64_0_0_2v
; %bb.0:
	s_wait_loadcnt_dscnt 0x0
	s_wait_kmcnt 0x0
	s_mov_b32 s46, s33
	s_mov_b32 s33, s32
	s_or_saveexec_b32 s0, -1
	scratch_store_b32 off, v41, s33 offset:4 ; 4-byte Folded Spill
	s_wait_xcnt 0x0
	s_mov_b32 exec_lo, s0
	s_add_co_i32 s32, s32, 16
	scratch_store_b32 off, v40, s33         ; 4-byte Folded Spill
	v_writelane_b32 v41, s30, 0
	v_writelane_b32 v41, s31, 1
	s_trap 2
	ds_load_b32 v0, v0
	s_wait_dscnt 0x0
	v_cmp_gt_i32_e32 vcc_lo, 1, v0
	s_cbranch_vccnz .LBB3_8
; %bb.1:
	s_wait_xcnt 0x0
	v_and_b32_e32 v40, 0x3ff, v31
	s_mov_b32 s29, s12
	s_mov_b64 s[40:41], s[8:9]
	s_mov_b32 s44, 0
	s_get_pc_i64 s[42:43]
	s_add_nc_u64 s[42:43], s[42:43], _ZN12_GLOBAL__N_17runRingId8FuncProdIdE7ProtoLLLi0ELi2ELi0EEEviiP15ncclDevWorkColl@rel64+4
	s_branch .LBB3_3
.LBB3_2:                                ;   in Loop: Header=BB3_3 Depth=1
	s_or_b32 exec_lo, exec_lo, s45
	s_trap 2
	ds_load_b32 v0, v0
	s_add_co_i32 s44, s44, 1
	s_wait_dscnt 0x0
	v_cmp_lt_i32_e32 vcc_lo, s44, v0
	s_cbranch_vccz .LBB3_8
.LBB3_3:                                ; =>This Inner Loop Header: Depth=1
	s_trap 2
	ds_load_b32 v0, v0
	s_cmp_eq_u32 s44, 0
	s_cbranch_scc1 .LBB3_6
; %bb.4:                                ;   in Loop: Header=BB3_3 Depth=1
	s_trap 2
	s_wait_dscnt 0x0
	ds_load_b32 v1, v0
	s_wait_dscnt 0x0
	v_xor_b32_e32 v1, v1, v0
	s_delay_alu instid0(VALU_DEP_1) | instskip(NEXT) | instid1(VALU_DEP_1)
	v_and_b32_e32 v1, 0xff0000, v1
	v_cmp_eq_u32_e32 vcc_lo, 0, v1
	s_cbranch_vccnz .LBB3_6
; %bb.5:                                ;   in Loop: Header=BB3_3 Depth=1
	s_wait_storecnt 0x0
	s_barrier_signal -1
	s_barrier_wait -1
	ds_load_b32 v0, v0
.LBB3_6:                                ;   in Loop: Header=BB3_3 Depth=1
	s_wait_dscnt 0x0
	v_lshrrev_b32_e32 v0, 11, v0
	s_mov_b32 s45, exec_lo
	s_delay_alu instid0(VALU_DEP_1) | instskip(NEXT) | instid1(VALU_DEP_1)
	v_and_b32_e32 v1, 0x1fe0, v0
	v_cmpx_lt_u32_e64 v40, v1
	s_cbranch_execz .LBB3_2
; %bb.7:                                ;   in Loop: Header=BB3_3 Depth=1
	s_mov_b64 s[0:1], src_shared_base
	s_delay_alu instid0(SALU_CYCLE_1)
	v_dual_mov_b32 v0, v40 :: v_dual_mov_b32 v3, s1
	s_mov_b64 s[8:9], s[40:41]
	s_mov_b32 s12, s29
	s_swap_pc_i64 s[30:31], s[42:43]
	s_branch .LBB3_2
.LBB3_8:
	scratch_load_b32 v40, off, s33          ; 4-byte Folded Reload
	v_readlane_b32 s30, v41, 0
	v_readlane_b32 s31, v41, 1
	s_mov_b32 s32, s33
	s_wait_xcnt 0x0
	s_or_saveexec_b32 s0, -1
	scratch_load_b32 v41, off, s33 offset:4 ; 4-byte Folded Reload
	s_wait_xcnt 0x0
	s_mov_b32 exec_lo, s0
	s_mov_b32 s33, s46
	s_wait_loadcnt 0x0
	s_set_pc_i64 s[30:31]
.Lfunc_end3:
	.size	_Z48ncclDevFunc_ReduceScatter_RING_LL_Prod_f64_0_0_2v, .Lfunc_end3-_Z48ncclDevFunc_ReduceScatter_RING_LL_Prod_f64_0_0_2v
                                        ; -- End function
	.set .L_Z48ncclDevFunc_ReduceScatter_RING_LL_Prod_f64_0_0_2v.num_vgpr, max(42, .L_ZN12_GLOBAL__N_17runRingId8FuncProdIdE7ProtoLLLi0ELi2ELi0EEEviiP15ncclDevWorkColl.num_vgpr)
	.set .L_Z48ncclDevFunc_ReduceScatter_RING_LL_Prod_f64_0_0_2v.num_agpr, max(0, .L_ZN12_GLOBAL__N_17runRingId8FuncProdIdE7ProtoLLLi0ELi2ELi0EEEviiP15ncclDevWorkColl.num_agpr)
	.set .L_Z48ncclDevFunc_ReduceScatter_RING_LL_Prod_f64_0_0_2v.numbered_sgpr, max(47, .L_ZN12_GLOBAL__N_17runRingId8FuncProdIdE7ProtoLLLi0ELi2ELi0EEEviiP15ncclDevWorkColl.numbered_sgpr)
	.set .L_Z48ncclDevFunc_ReduceScatter_RING_LL_Prod_f64_0_0_2v.num_named_barrier, max(0, .L_ZN12_GLOBAL__N_17runRingId8FuncProdIdE7ProtoLLLi0ELi2ELi0EEEviiP15ncclDevWorkColl.num_named_barrier)
	.set .L_Z48ncclDevFunc_ReduceScatter_RING_LL_Prod_f64_0_0_2v.private_seg_size, 16+max(.L_ZN12_GLOBAL__N_17runRingId8FuncProdIdE7ProtoLLLi0ELi2ELi0EEEviiP15ncclDevWorkColl.private_seg_size)
	.set .L_Z48ncclDevFunc_ReduceScatter_RING_LL_Prod_f64_0_0_2v.uses_vcc, or(1, .L_ZN12_GLOBAL__N_17runRingId8FuncProdIdE7ProtoLLLi0ELi2ELi0EEEviiP15ncclDevWorkColl.uses_vcc)
	.set .L_Z48ncclDevFunc_ReduceScatter_RING_LL_Prod_f64_0_0_2v.uses_flat_scratch, or(0, .L_ZN12_GLOBAL__N_17runRingId8FuncProdIdE7ProtoLLLi0ELi2ELi0EEEviiP15ncclDevWorkColl.uses_flat_scratch)
	.set .L_Z48ncclDevFunc_ReduceScatter_RING_LL_Prod_f64_0_0_2v.has_dyn_sized_stack, or(0, .L_ZN12_GLOBAL__N_17runRingId8FuncProdIdE7ProtoLLLi0ELi2ELi0EEEviiP15ncclDevWorkColl.has_dyn_sized_stack)
	.set .L_Z48ncclDevFunc_ReduceScatter_RING_LL_Prod_f64_0_0_2v.has_recursion, or(1, .L_ZN12_GLOBAL__N_17runRingId8FuncProdIdE7ProtoLLLi0ELi2ELi0EEEviiP15ncclDevWorkColl.has_recursion)
	.set .L_Z48ncclDevFunc_ReduceScatter_RING_LL_Prod_f64_0_0_2v.has_indirect_call, or(0, .L_ZN12_GLOBAL__N_17runRingId8FuncProdIdE7ProtoLLLi0ELi2ELi0EEEviiP15ncclDevWorkColl.has_indirect_call)
	.section	.AMDGPU.csdata,"",@progbits
; Function info:
; codeLenInByte = 396
; TotalNumSgprs: 49
; NumVgprs: 120
; ScratchSize: 92
; MemoryBound: 0
	.text
	.p2align	2                               ; -- Begin function _ZN12_GLOBAL__N_17runRingId8FuncProdIdE7ProtoLLLi0ELi4ELi0EEEviiP15ncclDevWorkColl
	.type	_ZN12_GLOBAL__N_17runRingId8FuncProdIdE7ProtoLLLi0ELi4ELi0EEEviiP15ncclDevWorkColl,@function
_ZN12_GLOBAL__N_17runRingId8FuncProdIdE7ProtoLLLi0ELi4ELi0EEEviiP15ncclDevWorkColl: ; @_ZN12_GLOBAL__N_17runRingId8FuncProdIdE7ProtoLLLi0ELi4ELi0EEEviiP15ncclDevWorkColl
; %bb.0:
	s_wait_loadcnt_dscnt 0x0
	s_wait_kmcnt 0x0
	s_clause 0x11
	scratch_store_b32 off, v40, s32 offset:68
	; meta instruction
	scratch_store_b32 off, v41, s32 offset:64
	; meta instruction
	scratch_store_b32 off, v42, s32 offset:60
	; meta instruction
	scratch_store_b32 off, v43, s32 offset:56
	; meta instruction
	scratch_store_b32 off, v44, s32 offset:52
	; meta instruction
	scratch_store_b32 off, v45, s32 offset:48
	; meta instruction
	scratch_store_b32 off, v46, s32 offset:44
	; meta instruction
	scratch_store_b32 off, v47, s32 offset:40
	; meta instruction
	scratch_store_b32 off, v56, s32 offset:36
	; meta instruction
	scratch_store_b32 off, v57, s32 offset:32
	; meta instruction
	scratch_store_b32 off, v58, s32 offset:28
	; meta instruction
	scratch_store_b32 off, v59, s32 offset:24
	; meta instruction
	scratch_store_b32 off, v60, s32 offset:20
	; meta instruction
	scratch_store_b32 off, v61, s32 offset:16
	; meta instruction
	scratch_store_b32 off, v62, s32 offset:12
	; meta instruction
	scratch_store_b32 off, v63, s32 offset:8
	; meta instruction
	scratch_store_b32 off, v72, s32 offset:4
	; meta instruction
	scratch_store_b32 off, v73, s32
	s_trap 2
	s_clause 0x2
	flat_load_b32 v12, v[2:3]
	flat_load_b128 v[4:7], v[2:3] offset:72
	flat_load_b64 v[68:69], v[2:3] offset:88
	v_mov_b32_e32 v22, v1
	ds_load_b32 v8, v0
	ds_load_b64 v[24:25], v0
	s_mov_b32 s0, exec_lo
                                        ; implicit-def: $vgpr16_vgpr17
                                        ; implicit-def: $vgpr26_vgpr27
	s_wait_dscnt 0x1
	v_readfirstlane_b32 s12, v8
	s_wait_loadcnt 0x2
	v_bfe_u32 v9, v12, 8, 8
	v_bitop3_b32 v1, v12, 0xff, v12 bitop3:0x3f
	s_delay_alu instid0(VALU_DEP_1) | instskip(NEXT) | instid1(VALU_DEP_1)
	v_add_nc_u32_e32 v10, v9, v1
	v_ashrrev_i32_e32 v11, 31, v10
	s_wait_loadcnt 0x1
	s_delay_alu instid0(VALU_DEP_1) | instskip(SKIP_2) | instid1(VALU_DEP_1)
	v_mul_u64_e32 v[18:19], v[6:7], v[10:11]
	v_and_b32_e32 v10, 0xff, v12
	s_wait_xcnt 0x0
	v_cmpx_ne_u32_e64 v8, v10
	s_xor_b32 s0, exec_lo, s0
	s_cbranch_execz .LBB4_6
; %bb.1:
	s_mov_b32 s1, exec_lo
                                        ; implicit-def: $vgpr16_vgpr17
                                        ; implicit-def: $vgpr26_vgpr27
	v_cmpx_ne_u32_e64 v8, v9
	s_xor_b32 s1, exec_lo, s1
	s_cbranch_execz .LBB4_3
; %bb.2:
	flat_load_b64 v[10:11], v[2:3] offset:96
	v_add_nc_u32_e32 v1, v8, v1
	s_delay_alu instid0(VALU_DEP_1) | instskip(NEXT) | instid1(VALU_DEP_1)
	v_mad_nc_u64_u32 v[26:27], v6, v1, v[4:5]
	v_mad_u32 v8, v7, v1, v27
	v_ashrrev_i32_e32 v1, 31, v1
	s_delay_alu instid0(VALU_DEP_1)
	v_mad_u32 v27, v6, v1, v8
	s_wait_loadcnt_dscnt 0x0
	v_lshrrev_b64 v[16:17], 20, v[10:11]
.LBB4_3:
	s_wait_xcnt 0x0
	s_and_not1_saveexec_b32 s1, s1
	s_cbranch_execz .LBB4_5
; %bb.4:
	flat_load_b32 v1, v[2:3] offset:100
	v_add_nc_u64_e32 v[26:27], v[18:19], v[4:5]
	s_wait_loadcnt 0x1
	v_mov_b64_e32 v[6:7], v[68:69]
	s_wait_loadcnt_dscnt 0x0
	v_lshrrev_b32_e32 v16, 9, v1
.LBB4_5:
	s_wait_xcnt 0x0
	s_or_b32 exec_lo, exec_lo, s1
.LBB4_6:
	s_and_not1_saveexec_b32 s0, s0
	s_cbranch_execz .LBB4_8
; %bb.7:
	flat_load_b64 v[6:7], v[2:3] offset:96
	v_mov_b64_e32 v[26:27], 0
	s_wait_loadcnt_dscnt 0x0
	v_lshlrev_b64_e32 v[16:17], 1, v[6:7]
	v_mov_b64_e32 v[6:7], v[4:5]
.LBB4_8:
	s_wait_xcnt 0x0
	s_or_b32 exec_lo, exec_lo, s0
	s_load_b32 s0, s[8:9], 0x0
	s_clause 0x1
	flat_load_u16 v13, v[2:3] offset:8
	flat_load_b32 v12, v[2:3] offset:4
	s_bfe_u32 s1, ttmp6, 0x4000c
	s_and_b32 s2, ttmp6, 15
	s_add_co_i32 s1, s1, 1
	s_getreg_b32 s3, hwreg(HW_REG_IB_STS2, 6, 4)
	s_mul_i32 s1, ttmp9, s1
	v_mov_b32_e32 v1, 0
	s_add_co_i32 s2, s2, s1
	s_cmp_eq_u32 s3, 0
	s_mov_b32 s1, 0
	s_cselect_b32 s2, ttmp9, s2
	v_mov_b64_e32 v[28:29], 0
	s_wait_kmcnt 0x0
	s_cmp_lt_u32 s2, s0
	s_cselect_b32 s0, 12, 18
	s_delay_alu instid0(SALU_CYCLE_1)
	s_add_nc_u64 s[2:3], s[8:9], s[0:1]
	flat_load_b128 v[8:11], v[2:3] offset:16
	global_load_u16 v17, v1, s[2:3]
	s_wait_xcnt 0x0
	v_ashrrev_i32_e32 v1, 31, v0
	s_trap 2
	ds_load_b32 v2, v0
	v_lshrrev_b32_e32 v3, 27, v1
	s_delay_alu instid0(VALU_DEP_1) | instskip(NEXT) | instid1(VALU_DEP_1)
	v_add_nc_u32_e32 v3, v0, v3
	v_and_b32_e32 v3, 0xffffffe0, v3
	s_wait_dscnt 0x0
	v_cmp_gt_i32_e32 vcc_lo, 0, v2
	v_readfirstlane_b32 s2, v2
	s_and_b32 vcc_lo, exec_lo, vcc_lo
	s_wait_loadcnt 0x2
	v_lshrrev_b64 v[14:15], 31, v[12:13]
	v_sub_nc_u32_e32 v12, v0, v3
	s_delay_alu instid0(VALU_DEP_1) | instskip(NEXT) | instid1(VALU_DEP_3)
	v_cmp_eq_u32_e64 s0, 0, v12
	v_and_b32_e32 v3, 3, v14
	s_delay_alu instid0(VALU_DEP_1)
	v_and_b32_e32 v13, 0xffff, v3
	s_cbranch_vccnz .LBB4_10
; %bb.9:
	s_trap 2
	ds_load_b64 v[14:15], v0
	s_mov_b32 s1, 1
	s_wait_dscnt 0x0
	v_readfirstlane_b32 s4, v14
	v_readfirstlane_b32 s5, v15
	flat_load_b64 v[2:3], v2, s[4:5] scale_offset
	s_wait_loadcnt_dscnt 0x0
	v_mad_nc_u64_u32 v[2:3], 0xa8, v13, v[2:3]
	s_clause 0x1
	flat_load_b64 v[34:35], v[2:3] offset:504
	flat_load_b64 v[36:37], v[2:3] offset:608
	v_add_nc_u64_e32 v[32:33], 0x1f8, v[2:3]
	s_wait_xcnt 0x0
	s_delay_alu instid0(VALU_DEP_1)
	v_dual_cndmask_b32 v3, 0, v33, s0 :: v_dual_cndmask_b32 v2, 0, v32, s0
	s_branch .LBB4_11
.LBB4_10:
	v_mov_b64_e32 v[32:33], 0
	v_mov_b64_e32 v[2:3], 0
                                        ; implicit-def: $vgpr36_vgpr37
                                        ; implicit-def: $vgpr34_vgpr35
.LBB4_11:
	s_trap 2
	ds_load_b32 v14, v0
	s_wait_dscnt 0x0
	v_cmp_gt_i32_e32 vcc_lo, 0, v14
	s_cbranch_vccnz .LBB4_13
; %bb.12:
	s_trap 2
	ds_load_b64 v[20:21], v0
	v_cmp_eq_u32_e32 vcc_lo, 0, v12
	s_wait_dscnt 0x0
	v_readfirstlane_b32 s4, v20
	v_readfirstlane_b32 s5, v21
	flat_load_b64 v[14:15], v14, s[4:5] scale_offset
	s_wait_loadcnt_dscnt 0x0
	v_mad_nc_u64_u32 v[28:29], 0xa8, v13, v[14:15]
	s_clause 0x1
	flat_load_b64 v[38:39], v[28:29]
	flat_load_b64 v[20:21], v[28:29] offset:104
	v_dual_cndmask_b32 v55, 0, v29 :: v_dual_cndmask_b32 v54, 0, v28
	s_branch .LBB4_14
.LBB4_13:
	v_mov_b64_e32 v[54:55], 0
                                        ; implicit-def: $vgpr20_vgpr21
                                        ; implicit-def: $vgpr38_vgpr39
.LBB4_14:
	s_wait_xcnt 0x2
	v_subrev_nc_u32_e32 v14, 32, v22
	v_cmp_gt_i32_e32 vcc_lo, s1, v12
	v_mov_b64_e32 v[12:13], 0
	v_mov_b64_e32 v[50:51], 0
                                        ; implicit-def: $vgpr48_vgpr49
	s_delay_alu instid0(VALU_DEP_4)
	v_cmp_ge_i32_e64 s0, v0, v14
	s_and_b32 s11, s0, vcc_lo
	s_wait_xcnt 0x0
	s_and_saveexec_b32 s0, s11
	s_cbranch_execz .LBB4_16
; %bb.15:
	s_clause 0x1
	flat_load_b64 v[50:51], v[2:3] offset:56
	flat_load_b64 v[48:49], v[2:3] offset:104
.LBB4_16:
	s_wait_xcnt 0x0
	s_or_b32 exec_lo, exec_lo, s0
	v_mov_b64_e32 v[52:53], 0
	v_cmp_gt_i32_e64 s0, s1, v0
                                        ; implicit-def: $vgpr64_vgpr65
	s_and_saveexec_b32 s1, s0
	s_cbranch_execz .LBB4_18
; %bb.17:
	flat_load_b64 v[52:53], v[54:55] offset:56
	s_wait_loadcnt_dscnt 0x0
	flat_load_b64 v[64:65], v[52:53] scope:SCOPE_SYS
	s_wait_loadcnt 0x0
	flat_load_b128 v[12:15], v[54:55] offset:96
.LBB4_18:
	s_wait_xcnt 0x0
	s_or_b32 exec_lo, exec_lo, s1
	v_mov_b64_e32 v[54:55], 0
	s_wait_loadcnt 0x0
	v_and_b32_e32 v30, 0xffff, v17
	s_mov_b32 s14, exec_lo
	v_cmpx_ne_u64_e32 0, v[6:7]
	s_cbranch_execnz .LBB4_34
; %bb.19:
	s_or_b32 exec_lo, exec_lo, s14
	s_and_saveexec_b32 s1, s11
	s_cbranch_execnz .LBB4_202
.LBB4_20:
	s_or_b32 exec_lo, exec_lo, s1
	s_and_saveexec_b32 s1, s0
	s_cbranch_execz .LBB4_22
.LBB4_21:
	s_wait_dscnt 0x0
	flat_store_b64 v[28:29], v[14:15] offset:104
.LBB4_22:
	s_wait_xcnt 0x0
	s_or_b32 exec_lo, exec_lo, s1
	s_delay_alu instid0(SALU_CYCLE_1)
	s_mov_b32 s0, exec_lo
	v_cmpx_ne_u32_e32 32, v22
	s_cbranch_execz .LBB4_209
; %bb.23:
	s_mov_b32 s1, exec_lo
	v_cmpx_ne_u32_e64 v22, v30
	s_xor_b32 s1, exec_lo, s1
	s_cbranch_execz .LBB4_207
; %bb.24:
	v_and_b32_e32 v0, 31, v31
	s_mov_b32 s2, exec_lo
	s_delay_alu instid0(VALU_DEP_1)
	v_cmpx_eq_u32_e32 0, v0
	s_cbranch_execz .LBB4_206
; %bb.25:
	s_mov_b32 s4, exec_lo
	s_mov_b32 s3, exec_lo
	v_mbcnt_lo_u32_b32 v0, s4, 0
	global_wb scope:SCOPE_DEV
	s_wait_storecnt 0x0
	s_wait_loadcnt_dscnt 0x0
	global_inv scope:SCOPE_DEV
	v_cmpx_eq_u32_e32 0, v0
	s_cbranch_execz .LBB4_27
; %bb.26:
	s_bcnt1_i32_b32 s4, s4
	s_delay_alu instid0(SALU_CYCLE_1)
	v_dual_mov_b32 v1, 0 :: v_dual_mov_b32 v0, s4
	s_wait_loadcnt 0x0
	ds_add_u64 v0, v[0:1]
	s_trap 2
.LBB4_27:
	s_or_b32 exec_lo, exec_lo, s3
	s_trap 2
	ds_load_b64 v[2:3], v0
	s_wait_dscnt 0x0
	v_dual_mov_b32 v1, 0 :: v_dual_lshrrev_b32 v0, 5, v22
	s_mov_b32 s3, exec_lo
	s_delay_alu instid0(VALU_DEP_1) | instskip(NEXT) | instid1(VALU_DEP_1)
	v_add_nc_u64_e32 v[0:1], v[54:55], v[0:1]
	v_cmpx_lt_u64_e64 v[2:3], v[0:1]
	s_cbranch_execz .LBB4_205
; %bb.28:
	s_mov_b32 s4, 0
	s_mov_b32 s7, 0
                                        ; implicit-def: $sgpr5
                                        ; implicit-def: $sgpr6
	s_branch .LBB4_30
.LBB4_29:                               ;   in Loop: Header=BB4_30 Depth=1
	s_or_b32 exec_lo, exec_lo, s9
	s_delay_alu instid0(SALU_CYCLE_1) | instskip(NEXT) | instid1(SALU_CYCLE_1)
	s_and_b32 s8, exec_lo, s10
	s_or_b32 s4, s8, s4
	s_and_not1_b32 s5, s5, exec_lo
	s_and_b32 s8, s6, exec_lo
	s_delay_alu instid0(SALU_CYCLE_1)
	s_or_b32 s5, s5, s8
	s_and_not1_b32 exec_lo, exec_lo, s4
	s_cbranch_execz .LBB4_203
.LBB4_30:                               ; =>This Inner Loop Header: Depth=1
	s_add_co_i32 s7, s7, 1
	s_delay_alu instid0(SALU_CYCLE_1) | instskip(SKIP_1) | instid1(SALU_CYCLE_1)
	s_cmp_lg_u32 s7, 0x2710
	s_cselect_b32 s8, -1, 0
	s_and_b32 vcc_lo, exec_lo, s8
	s_cbranch_vccz .LBB4_32
; %bb.31:                               ;   in Loop: Header=BB4_30 Depth=1
	s_mov_b32 s10, -1
	s_or_b32 s6, s6, exec_lo
	s_and_saveexec_b32 s9, s8
	s_cbranch_execz .LBB4_29
	s_branch .LBB4_33
.LBB4_32:                               ;   in Loop: Header=BB4_30 Depth=1
	s_trap 2
	ds_load_b64 v[2:3], v0
	s_and_not1_b32 s8, s8, exec_lo
	s_mov_b32 s7, 0
	s_wait_loadcnt_dscnt 0x0
	flat_load_b32 v2, v[2:3] scope:SCOPE_SYS
	s_wait_loadcnt_dscnt 0x0
	global_inv scope:SCOPE_SYS
	v_cmp_eq_u32_e32 vcc_lo, 0, v2
	s_and_b32 s9, vcc_lo, exec_lo
	s_delay_alu instid0(SALU_CYCLE_1)
	s_or_b32 s8, s8, s9
	s_mov_b32 s10, -1
	s_or_b32 s6, s6, exec_lo
	s_and_saveexec_b32 s9, s8
	s_cbranch_execz .LBB4_29
.LBB4_33:                               ;   in Loop: Header=BB4_30 Depth=1
	s_sleep 1
	s_trap 2
	ds_load_b64 v[2:3], v0
	s_wait_dscnt 0x0
	s_and_not1_b32 s6, s6, exec_lo
	v_cmp_ge_u64_e32 vcc_lo, v[2:3], v[0:1]
	s_or_not1_b32 s10, vcc_lo, exec_lo
	s_branch .LBB4_29
.LBB4_34:
	v_add_nc_u64_e32 v[4:5], v[68:69], v[4:5]
	v_dual_mov_b32 v2, 0 :: v_dual_bitop2_b32 v3, 31, v31 bitop3:0x40
	s_ashr_i32 s1, s2, 31
	s_ashr_i32 s13, s12, 31
	s_lshr_b32 s1, s1, 29
	s_delay_alu instid0(VALU_DEP_1) | instskip(NEXT) | instid1(VALU_DEP_3)
	v_dual_mov_b32 v83, v2 :: v_dual_mov_b32 v23, v2
	v_add_nc_u64_e32 v[68:69], v[4:5], v[18:19]
	v_lshlrev_b64_e32 v[4:5], 3, v[0:1]
	v_dual_mov_b32 v19, v2 :: v_dual_bitop2_b32 v18, 7, v8 bitop3:0x40
	s_add_co_i32 s2, s2, s1
	v_cmp_eq_u32_e64 s5, 0, v3
	v_dual_lshlrev_b32 v3, 3, v16 :: v_dual_mov_b32 v97, v2
	s_delay_alu instid0(VALU_DEP_4)
	v_lshl_add_u64 v[54:55], v[26:27], 3, v[4:5]
	s_ashr_i32 s15, s2, 7
	s_lshl_b64 s[2:3], s[12:13], 2
	v_mov_b64_e32 v[80:81], 0
	v_add_nc_u64_e32 v[70:71], s[2:3], v[24:25]
	v_cmp_ne_u64_e64 s1, 0, v[52:53]
	s_wait_dscnt 0x0
	v_cmp_ne_u64_e64 s2, 0, v[12:13]
	v_add_nc_u64_e32 v[84:85], v[10:11], v[4:5]
	v_cmp_ne_u64_e64 s6, 0, v[50:51]
	v_add_nc_u64_e32 v[8:9], v[8:9], v[4:5]
	v_cmp_eq_u64_e64 s7, 0, v[18:19]
	v_add_nc_u64_e32 v[86:87], v[10:11], v[54:55]
	v_lshlrev_b64_e32 v[98:99], 3, v[68:69]
	v_lshlrev_b64_e32 v[100:101], 3, v[22:23]
	;; [unrolled: 1-line block ×3, first 2 shown]
	v_mov_b64_e32 v[54:55], 0
	v_and_b32_e32 v66, 0x3ffffe, v16
	v_dual_mov_b32 v67, v2 :: v_dual_lshrrev_b32 v82, 5, v22
	v_cmp_ne_u32_e64 s3, 32, v22
	v_cmp_ne_u32_e64 s4, v22, v30
	v_and_b32_e32 v96, 0x1fffff0, v3
	v_dual_mov_b32 v60, 1 :: v_dual_mov_b32 v61, 0
	v_lshl_add_u64 v[112:113], v[0:1], 4, v[38:39]
	s_cmp_gt_i32 s12, 2
	s_mov_b32 s13, 0
	s_cselect_b32 s16, -1, 0
	s_branch .LBB4_36
.LBB4_35:                               ;   in Loop: Header=BB4_36 Depth=1
	s_wait_xcnt 0x0
	s_or_b32 exec_lo, exec_lo, s8
	v_add_nc_u64_e32 v[80:81], v[80:81], v[66:67]
	v_add_nc_u64_e32 v[36:37], 1, v[36:37]
	;; [unrolled: 1-line block ×3, first 2 shown]
	s_delay_alu instid0(VALU_DEP_3) | instskip(SKIP_1) | instid1(SALU_CYCLE_1)
	v_cmp_ge_u64_e32 vcc_lo, v[80:81], v[6:7]
	s_or_b32 s13, vcc_lo, s13
	s_and_not1_b32 exec_lo, exec_lo, s13
	s_cbranch_execz .LBB4_201
.LBB4_36:                               ; =>This Loop Header: Depth=1
                                        ;     Child Loop BB4_41 Depth 2
                                        ;     Child Loop BB4_60 Depth 2
	;; [unrolled: 1-line block ×5, first 2 shown]
                                        ;       Child Loop BB4_86 Depth 3
                                        ;       Child Loop BB4_105 Depth 3
	;; [unrolled: 1-line block ×3, first 2 shown]
                                        ;         Child Loop BB4_132 Depth 4
                                        ;       Child Loop BB4_147 Depth 3
                                        ;       Child Loop BB4_122 Depth 3
                                        ;     Child Loop BB4_163 Depth 2
                                        ;       Child Loop BB4_168 Depth 3
                                        ;     Child Loop BB4_189 Depth 2
	s_wait_loadcnt_dscnt 0x0
	flat_load_b32 v3, v[70:71] offset:-4
	v_sub_nc_u64_e32 v[4:5], v[6:7], v[80:81]
	s_delay_alu instid0(VALU_DEP_1)
	v_min_u64 v[114:115], v[66:67], v[4:5]
	s_wait_xcnt 0x0
	s_and_saveexec_b32 s9, s1
	s_cbranch_execz .LBB4_52
; %bb.37:                               ;   in Loop: Header=BB4_36 Depth=1
	v_add_nc_u64_e32 v[4:5], 1, v[14:15]
	v_add_nc_u64_e32 v[16:17], 8, v[64:65]
	s_mov_b32 s10, exec_lo
	s_delay_alu instid0(VALU_DEP_1)
	v_cmpx_lt_u64_e64 v[16:17], v[4:5]
	s_cbranch_execz .LBB4_49
; %bb.38:                               ;   in Loop: Header=BB4_36 Depth=1
	s_mov_b32 s17, 0
	s_mov_b32 s21, 0
	v_cmp_eq_u32_e32 vcc_lo, 0, v61
                                        ; implicit-def: $sgpr18
                                        ; implicit-def: $sgpr19
                                        ; implicit-def: $sgpr20
	s_branch .LBB4_41
.LBB4_39:                               ;   in Loop: Header=BB4_41 Depth=2
	s_or_b32 exec_lo, exec_lo, s26
	v_mov_b32_e32 v16, 0
	s_and_not1_b32 s8, s20, exec_lo
	s_and_b32 s20, s24, exec_lo
	s_and_not1_b32 s19, s19, exec_lo
	s_and_b32 s23, s23, exec_lo
	s_or_b32 s20, s8, s20
	s_or_b32 s19, s19, s23
.LBB4_40:                               ;   in Loop: Header=BB4_41 Depth=2
	s_or_b32 exec_lo, exec_lo, s22
	s_delay_alu instid0(SALU_CYCLE_1) | instskip(NEXT) | instid1(SALU_CYCLE_1)
	s_and_b32 s8, exec_lo, s19
	s_or_b32 s17, s8, s17
	s_and_not1_b32 s8, s18, exec_lo
	s_and_b32 s18, s20, exec_lo
	s_delay_alu instid0(SALU_CYCLE_1)
	s_or_b32 s18, s8, s18
	s_and_not1_b32 exec_lo, exec_lo, s17
	s_cbranch_execz .LBB4_46
.LBB4_41:                               ;   Parent Loop BB4_36 Depth=1
                                        ; =>  This Inner Loop Header: Depth=2
	s_sleep 1
	s_wait_loadcnt_dscnt 0x0
	flat_load_b64 v[64:65], v[52:53] scope:SCOPE_DEV
	v_mov_b32_e32 v16, v61
	s_or_b32 s20, s20, exec_lo
	s_or_b32 s19, s19, exec_lo
                                        ; implicit-def: $vgpr15
	s_wait_xcnt 0x0
	s_and_saveexec_b32 s22, vcc_lo
	s_cbranch_execz .LBB4_40
; %bb.42:                               ;   in Loop: Header=BB4_41 Depth=2
	s_add_co_i32 s21, s21, 1
	s_mov_b32 s23, -1
	s_cmp_lg_u32 s21, 0x2710
	s_mov_b32 s24, -1
	s_cselect_b32 s25, -1, 0
	s_cmp_eq_u32 s21, 0x2710
                                        ; implicit-def: $vgpr15
	s_cbranch_scc1 .LBB4_44
; %bb.43:                               ;   in Loop: Header=BB4_41 Depth=2
	s_and_saveexec_b32 s26, s25
	s_cbranch_execz .LBB4_39
	s_branch .LBB4_45
.LBB4_44:                               ;   in Loop: Header=BB4_41 Depth=2
	s_trap 2
	ds_load_b64 v[16:17], v0
	s_and_not1_b32 s21, s25, exec_lo
	s_mov_b32 s24, 0
	s_wait_storecnt 0x0
	s_wait_loadcnt_dscnt 0x0
	flat_load_b32 v15, v[16:17] scope:SCOPE_SYS
	s_wait_loadcnt_dscnt 0x0
	global_inv scope:SCOPE_SYS
	v_cmp_eq_u32_e64 s8, 0, v15
	s_and_b32 s8, s8, exec_lo
	s_delay_alu instid0(SALU_CYCLE_1)
	s_or_b32 s25, s21, s8
	s_mov_b32 s21, 0
	s_wait_xcnt 0x0
	s_and_saveexec_b32 s26, s25
	s_cbranch_execz .LBB4_39
.LBB4_45:                               ;   in Loop: Header=BB4_41 Depth=2
	s_wait_loadcnt_dscnt 0x0
	v_add_nc_u64_e32 v[16:17], 8, v[64:65]
	s_or_b32 s24, s24, exec_lo
	s_delay_alu instid0(VALU_DEP_1)
	v_cmp_ge_u64_e64 s8, v[16:17], v[4:5]
	s_or_not1_b32 s23, s8, exec_lo
	s_branch .LBB4_39
.LBB4_46:                               ;   in Loop: Header=BB4_36 Depth=1
	s_or_b32 exec_lo, exec_lo, s17
	s_xor_b32 s8, s18, -1
	s_delay_alu instid0(SALU_CYCLE_1) | instskip(NEXT) | instid1(SALU_CYCLE_1)
	s_and_saveexec_b32 s17, s8
	s_xor_b32 s8, exec_lo, s17
	s_cbranch_execz .LBB4_48
; %bb.47:                               ;   in Loop: Header=BB4_36 Depth=1
	v_mov_b32_e32 v16, 1
	s_wait_storecnt 0x0
	s_wait_loadcnt_dscnt 0x0
	ds_store_b32 v0, v15
	s_trap 2
.LBB4_48:                               ;   in Loop: Header=BB4_36 Depth=1
	s_or_b32 exec_lo, exec_lo, s8
	v_mov_b32_e32 v61, v16
.LBB4_49:                               ;   in Loop: Header=BB4_36 Depth=1
	s_or_b32 exec_lo, exec_lo, s10
	s_and_saveexec_b32 s8, s2
	s_cbranch_execz .LBB4_51
; %bb.50:                               ;   in Loop: Header=BB4_36 Depth=1
	v_and_b32_e32 v16, 0x7ffffff8, v14
	v_dual_mov_b32 v17, v2 :: v_dual_bitop2_b32 v14, 7, v14 bitop3:0x40
	s_delay_alu instid0(VALU_DEP_1) | instskip(NEXT) | instid1(VALU_DEP_2)
	v_cmp_eq_u64_e32 vcc_lo, 0x7ffffff8, v[16:17]
	v_mad_nc_u64_u32 v[14:15], v14, 24, v[12:13]
	v_cndmask_b32_e64 v16, v114, s15, vcc_lo
	s_delay_alu instid0(VALU_DEP_1) | instskip(NEXT) | instid1(VALU_DEP_1)
	v_lshlrev_b32_e32 v16, 4, v16
	v_ashrrev_i32_e32 v17, 31, v16
	flat_store_b64 v[14:15], v[16:17] offset:8 scope:SCOPE_SYS
	s_wait_storecnt 0x0
.LBB4_51:                               ;   in Loop: Header=BB4_36 Depth=1
	s_wait_xcnt 0x0
	s_or_b32 exec_lo, exec_lo, s8
	v_mov_b64_e32 v[14:15], v[4:5]
.LBB4_52:                               ;   in Loop: Header=BB4_36 Depth=1
	s_or_b32 exec_lo, exec_lo, s9
	s_and_saveexec_b32 s8, s3
	s_cbranch_execz .LBB4_71
; %bb.53:                               ;   in Loop: Header=BB4_36 Depth=1
	s_and_saveexec_b32 s9, s4
	s_delay_alu instid0(SALU_CYCLE_1)
	s_xor_b32 s9, exec_lo, s9
	s_cbranch_execz .LBB4_68
; %bb.54:                               ;   in Loop: Header=BB4_36 Depth=1
	s_and_saveexec_b32 s10, s5
	s_cbranch_execz .LBB4_67
; %bb.55:                               ;   in Loop: Header=BB4_36 Depth=1
	s_mov_b32 s18, exec_lo
	s_mov_b32 s17, exec_lo
	v_mbcnt_lo_u32_b32 v4, s18, 0
	global_wb scope:SCOPE_DEV
	s_wait_storecnt 0x0
	s_wait_loadcnt_dscnt 0x0
	global_inv scope:SCOPE_DEV
	v_cmpx_eq_u32_e32 0, v4
	s_cbranch_execz .LBB4_57
; %bb.56:                               ;   in Loop: Header=BB4_36 Depth=1
	s_bcnt1_i32_b32 s18, s18
	s_delay_alu instid0(SALU_CYCLE_1)
	v_dual_mov_b32 v5, v2 :: v_dual_mov_b32 v4, s18
	s_wait_loadcnt 0x0
	ds_add_u64 v0, v[4:5]
	s_trap 2
.LBB4_57:                               ;   in Loop: Header=BB4_36 Depth=1
	s_or_b32 exec_lo, exec_lo, s17
	s_trap 2
	ds_load_b64 v[4:5], v0
	s_wait_dscnt 0x0
	v_add_nc_u64_e32 v[54:55], v[54:55], v[82:83]
	s_mov_b32 s17, exec_lo
	s_delay_alu instid0(VALU_DEP_1)
	v_cmpx_lt_u64_e64 v[4:5], v[54:55]
	s_cbranch_execz .LBB4_66
; %bb.58:                               ;   in Loop: Header=BB4_36 Depth=1
	s_mov_b32 s18, 0
	s_mov_b32 s21, 0
                                        ; implicit-def: $sgpr19
                                        ; implicit-def: $sgpr20
	s_branch .LBB4_60
.LBB4_59:                               ;   in Loop: Header=BB4_60 Depth=2
	s_or_b32 exec_lo, exec_lo, s23
	s_delay_alu instid0(SALU_CYCLE_1) | instskip(NEXT) | instid1(SALU_CYCLE_1)
	s_and_b32 s22, exec_lo, s24
	s_or_b32 s18, s22, s18
	s_and_not1_b32 s19, s19, exec_lo
	s_and_b32 s22, s20, exec_lo
	s_delay_alu instid0(SALU_CYCLE_1)
	s_or_b32 s19, s19, s22
	s_and_not1_b32 exec_lo, exec_lo, s18
	s_cbranch_execz .LBB4_64
.LBB4_60:                               ;   Parent Loop BB4_36 Depth=1
                                        ; =>  This Inner Loop Header: Depth=2
	s_add_co_i32 s21, s21, 1
	s_delay_alu instid0(SALU_CYCLE_1) | instskip(SKIP_1) | instid1(SALU_CYCLE_1)
	s_cmp_lg_u32 s21, 0x2710
	s_cselect_b32 s22, -1, 0
	s_and_b32 vcc_lo, exec_lo, s22
	s_cbranch_vccz .LBB4_62
; %bb.61:                               ;   in Loop: Header=BB4_60 Depth=2
	s_mov_b32 s24, -1
	s_or_b32 s20, s20, exec_lo
	s_and_saveexec_b32 s23, s22
	s_cbranch_execz .LBB4_59
	s_branch .LBB4_63
.LBB4_62:                               ;   in Loop: Header=BB4_60 Depth=2
	s_trap 2
	ds_load_b64 v[4:5], v0
	s_and_not1_b32 s22, s22, exec_lo
	s_mov_b32 s21, 0
	s_wait_loadcnt_dscnt 0x0
	flat_load_b32 v4, v[4:5] scope:SCOPE_SYS
	s_wait_loadcnt_dscnt 0x0
	global_inv scope:SCOPE_SYS
	v_cmp_eq_u32_e32 vcc_lo, 0, v4
	s_and_b32 s23, vcc_lo, exec_lo
	s_delay_alu instid0(SALU_CYCLE_1)
	s_or_b32 s22, s22, s23
	s_mov_b32 s24, -1
	s_or_b32 s20, s20, exec_lo
	s_wait_xcnt 0x0
	s_and_saveexec_b32 s23, s22
	s_cbranch_execz .LBB4_59
.LBB4_63:                               ;   in Loop: Header=BB4_60 Depth=2
	s_sleep 1
	s_trap 2
	ds_load_b64 v[4:5], v0
	s_wait_dscnt 0x0
	s_and_not1_b32 s20, s20, exec_lo
	v_cmp_ge_u64_e32 vcc_lo, v[4:5], v[54:55]
	s_or_not1_b32 s24, vcc_lo, exec_lo
	s_branch .LBB4_59
.LBB4_64:                               ;   in Loop: Header=BB4_36 Depth=1
	s_or_b32 exec_lo, exec_lo, s18
	s_and_saveexec_b32 s18, s19
	s_delay_alu instid0(SALU_CYCLE_1)
	s_xor_b32 s18, exec_lo, s18
	s_cbranch_execz .LBB4_66
; %bb.65:                               ;   in Loop: Header=BB4_36 Depth=1
	ds_store_b32 v0, v60
	s_trap 2
.LBB4_66:                               ;   in Loop: Header=BB4_36 Depth=1
	s_or_b32 exec_lo, exec_lo, s17
	;;#ASMSTART
	s_wakeup
	;;#ASMEND
.LBB4_67:                               ;   in Loop: Header=BB4_36 Depth=1
	s_or_b32 exec_lo, exec_lo, s10
.LBB4_68:                               ;   in Loop: Header=BB4_36 Depth=1
	s_and_not1_saveexec_b32 s9, s9
	s_cbranch_execz .LBB4_70
; %bb.69:                               ;   in Loop: Header=BB4_36 Depth=1
	global_wb scope:SCOPE_DEV
	s_wait_storecnt 0x0
	s_wait_loadcnt_dscnt 0x0
	global_inv scope:SCOPE_DEV
	s_barrier_signal -1
	s_barrier_wait -1
.LBB4_70:                               ;   in Loop: Header=BB4_36 Depth=1
	s_or_b32 exec_lo, exec_lo, s9
.LBB4_71:                               ;   in Loop: Header=BB4_36 Depth=1
	s_delay_alu instid0(SALU_CYCLE_1) | instskip(NEXT) | instid1(VALU_DEP_1)
	s_or_b32 exec_lo, exec_lo, s8
	v_dual_sub_nc_u32 v62, v114, v0 :: v_dual_mov_b32 v116, v0
	v_dual_add_nc_u32 v17, 1, v20 :: v_dual_bitop2_b32 v115, 7, v20 bitop3:0x40
	s_delay_alu instid0(VALU_DEP_2)
	v_cmp_lt_i32_e64 s8, 0, v62
	s_and_saveexec_b32 s9, s8
	s_cbranch_execz .LBB4_75
; %bb.72:                               ;   in Loop: Header=BB4_36 Depth=1
	s_wait_loadcnt_dscnt 0x0
	v_mad_nc_u64_u32 v[4:5], v98, v3, v[86:87]
	v_mul_lo_u32 v18, v115, s15
	s_mov_b32 s10, 0
	v_mov_b32_e32 v116, v0
	s_delay_alu instid0(VALU_DEP_3) | instskip(NEXT) | instid1(VALU_DEP_3)
	v_mad_u32 v5, v99, v3, v5
	v_dual_ashrrev_i32 v3, 31, v3 :: v_dual_ashrrev_i32 v19, 31, v18
	s_delay_alu instid0(VALU_DEP_1) | instskip(NEXT) | instid1(VALU_DEP_2)
	v_lshl_add_u64 v[118:119], v[18:19], 4, v[112:113]
	v_mad_u32 v5, v98, v3, v5
	v_mov_b32_e32 v3, v62
.LBB4_73:                               ;   Parent Loop BB4_36 Depth=1
                                        ; =>  This Inner Loop Header: Depth=2
	global_load_b64 v[40:41], v[4:5], off th:TH_LOAD_NT
	v_dual_mov_b32 v19, v17 :: v_dual_sub_nc_u32 v3, v3, v22
	s_wait_xcnt 0x0
	v_add_nc_u64_e32 v[4:5], v[4:5], v[100:101]
	v_add_nc_u32_e32 v116, v116, v22
	s_delay_alu instid0(VALU_DEP_3)
	v_cmp_gt_i32_e32 vcc_lo, 1, v3
	s_or_b32 s10, vcc_lo, s10
	s_wait_loadcnt 0x0
	v_dual_mov_b32 v16, v40 :: v_dual_mov_b32 v18, v41
	global_store_b128 v[118:119], v[16:19], off
	s_wait_xcnt 0x0
	v_add_nc_u64_e32 v[118:119], v[118:119], v[102:103]
	s_and_not1_b32 exec_lo, exec_lo, s10
	s_cbranch_execnz .LBB4_73
; %bb.74:                               ;   in Loop: Header=BB4_36 Depth=1
	s_or_b32 exec_lo, exec_lo, s10
.LBB4_75:                               ;   in Loop: Header=BB4_36 Depth=1
	s_delay_alu instid0(SALU_CYCLE_1) | instskip(SKIP_3) | instid1(VALU_DEP_2)
	s_or_b32 exec_lo, exec_lo, s9
	v_and_b32_e32 v4, 0x7ffffff8, v20
	v_mov_b32_e32 v5, v2
	v_cmp_gt_i32_e64 s9, s15, v116
	v_cmp_eq_u64_e32 vcc_lo, 0x7ffffff8, v[4:5]
	s_and_b32 s10, vcc_lo, s9
	s_delay_alu instid0(SALU_CYCLE_1)
	s_and_saveexec_b32 s9, s10
	s_cbranch_execz .LBB4_78
; %bb.76:                               ;   in Loop: Header=BB4_36 Depth=1
	v_mul_lo_u32 v4, v115, s15
	v_ashrrev_i32_e32 v117, 31, v116
	s_mov_b32 s10, 0
	s_wait_loadcnt_dscnt 0x0
	s_delay_alu instid0(VALU_DEP_2) | instskip(NEXT) | instid1(VALU_DEP_1)
	v_dual_mov_b32 v3, v17 :: v_dual_ashrrev_i32 v5, 31, v4
	v_lshlrev_b64_e32 v[4:5], 4, v[4:5]
	s_delay_alu instid0(VALU_DEP_1) | instskip(NEXT) | instid1(VALU_DEP_1)
	v_lshl_add_u64 v[4:5], v[116:117], 4, v[4:5]
	v_add_nc_u64_e32 v[18:19], v[38:39], v[4:5]
.LBB4_77:                               ;   Parent Loop BB4_36 Depth=1
                                        ; =>  This Inner Loop Header: Depth=2
	v_dual_mov_b32 v4, v2 :: v_dual_add_nc_u32 v116, v116, v22
	v_mov_b32_e32 v5, v3
	s_delay_alu instid0(VALU_DEP_2) | instskip(SKIP_4) | instid1(SALU_CYCLE_1)
	v_cmp_le_i32_e32 vcc_lo, s15, v116
	global_store_b128 v[18:19], v[2:5], off
	s_wait_xcnt 0x0
	v_add_nc_u64_e32 v[18:19], v[18:19], v[102:103]
	s_or_b32 s10, vcc_lo, s10
	s_and_not1_b32 exec_lo, exec_lo, s10
	s_cbranch_execnz .LBB4_77
.LBB4_78:                               ;   in Loop: Header=BB4_36 Depth=1
	s_or_b32 exec_lo, exec_lo, s9
	v_add_nc_u64_e32 v[116:117], v[80:81], v[26:27]
	v_add_nc_u64_e32 v[118:119], 1, v[20:21]
	s_and_not1_b32 vcc_lo, exec_lo, s16
	s_cbranch_vccnz .LBB4_158
; %bb.79:                               ;   in Loop: Header=BB4_36 Depth=1
	s_delay_alu instid0(VALU_DEP_2)
	v_lshl_add_u64 v[40:41], v[116:117], 3, v[84:85]
	v_add_nc_u16 v115, v20, 1
	s_mov_b32 s17, 2
	s_branch .LBB4_81
.LBB4_80:                               ;   in Loop: Header=BB4_81 Depth=2
	s_or_b32 exec_lo, exec_lo, s9
	v_add_nc_u64_e32 v[36:37], 1, v[36:37]
	v_add_nc_u64_e32 v[118:119], 1, v[118:119]
	v_add_nc_u16 v115, v115, 1
	s_add_co_i32 s17, s17, 1
	s_delay_alu instid0(SALU_CYCLE_1)
	s_cmp_eq_u32 s17, s12
	s_cbranch_scc1 .LBB4_158
.LBB4_81:                               ;   Parent Loop BB4_36 Depth=1
                                        ; =>  This Loop Header: Depth=2
                                        ;       Child Loop BB4_86 Depth 3
                                        ;       Child Loop BB4_105 Depth 3
	;; [unrolled: 1-line block ×3, first 2 shown]
                                        ;         Child Loop BB4_132 Depth 4
                                        ;       Child Loop BB4_147 Depth 3
                                        ;       Child Loop BB4_122 Depth 3
	s_sub_co_i32 s9, s12, s17
	v_readfirstlane_b32 s18, v24
	s_wait_loadcnt_dscnt 0x0
	v_mov_b32_e32 v3, s9
	v_readfirstlane_b32 s19, v25
	flat_load_b32 v4, v3, s[18:19] scale_offset
	s_wait_xcnt 0x0
	s_and_saveexec_b32 s10, s1
	s_cbranch_execz .LBB4_97
; %bb.82:                               ;   in Loop: Header=BB4_81 Depth=2
	v_add_nc_u64_e32 v[16:17], 1, v[14:15]
	v_add_nc_u64_e32 v[18:19], 8, v[64:65]
	s_mov_b32 s18, exec_lo
	s_delay_alu instid0(VALU_DEP_1)
	v_cmpx_lt_u64_e64 v[18:19], v[16:17]
	s_cbranch_execz .LBB4_94
; %bb.83:                               ;   in Loop: Header=BB4_81 Depth=2
	s_mov_b32 s19, 0
	s_mov_b32 s23, 0
	v_cmp_eq_u32_e32 vcc_lo, 0, v61
                                        ; implicit-def: $sgpr20
                                        ; implicit-def: $sgpr21
                                        ; implicit-def: $sgpr22
	s_branch .LBB4_86
.LBB4_84:                               ;   in Loop: Header=BB4_86 Depth=3
	s_or_b32 exec_lo, exec_lo, s28
	v_mov_b32_e32 v5, 0
	s_and_not1_b32 s9, s22, exec_lo
	s_and_b32 s22, s26, exec_lo
	s_and_not1_b32 s21, s21, exec_lo
	s_and_b32 s25, s25, exec_lo
	s_or_b32 s22, s9, s22
	s_or_b32 s21, s21, s25
.LBB4_85:                               ;   in Loop: Header=BB4_86 Depth=3
	s_or_b32 exec_lo, exec_lo, s24
	s_delay_alu instid0(SALU_CYCLE_1) | instskip(NEXT) | instid1(SALU_CYCLE_1)
	s_and_b32 s9, exec_lo, s21
	s_or_b32 s19, s9, s19
	s_and_not1_b32 s9, s20, exec_lo
	s_and_b32 s20, s22, exec_lo
	s_delay_alu instid0(SALU_CYCLE_1)
	s_or_b32 s20, s9, s20
	s_and_not1_b32 exec_lo, exec_lo, s19
	s_cbranch_execz .LBB4_91
.LBB4_86:                               ;   Parent Loop BB4_36 Depth=1
                                        ;     Parent Loop BB4_81 Depth=2
                                        ; =>    This Inner Loop Header: Depth=3
	s_sleep 1
	s_wait_loadcnt_dscnt 0x0
	flat_load_b64 v[64:65], v[52:53] scope:SCOPE_DEV
	v_mov_b32_e32 v5, v61
	s_or_b32 s22, s22, exec_lo
	s_or_b32 s21, s21, exec_lo
                                        ; implicit-def: $vgpr3
	s_wait_xcnt 0x0
	s_and_saveexec_b32 s24, vcc_lo
	s_cbranch_execz .LBB4_85
; %bb.87:                               ;   in Loop: Header=BB4_86 Depth=3
	s_add_co_i32 s23, s23, 1
	s_mov_b32 s25, -1
	s_cmp_lg_u32 s23, 0x2710
	s_mov_b32 s26, -1
	s_cselect_b32 s27, -1, 0
	s_cmp_eq_u32 s23, 0x2710
                                        ; implicit-def: $vgpr3
	s_cbranch_scc1 .LBB4_89
; %bb.88:                               ;   in Loop: Header=BB4_86 Depth=3
	s_and_saveexec_b32 s28, s27
	s_cbranch_execz .LBB4_84
	s_branch .LBB4_90
.LBB4_89:                               ;   in Loop: Header=BB4_86 Depth=3
	s_trap 2
	ds_load_b64 v[18:19], v0
	s_and_not1_b32 s23, s27, exec_lo
	s_mov_b32 s26, 0
	s_wait_storecnt 0x0
	s_wait_loadcnt_dscnt 0x0
	flat_load_b32 v3, v[18:19] scope:SCOPE_SYS
	s_wait_loadcnt_dscnt 0x0
	global_inv scope:SCOPE_SYS
	v_cmp_eq_u32_e64 s9, 0, v3
	s_and_b32 s9, s9, exec_lo
	s_delay_alu instid0(SALU_CYCLE_1)
	s_or_b32 s27, s23, s9
	s_mov_b32 s23, 0
	s_and_saveexec_b32 s28, s27
	s_cbranch_execz .LBB4_84
.LBB4_90:                               ;   in Loop: Header=BB4_86 Depth=3
	s_wait_loadcnt_dscnt 0x0
	v_add_nc_u64_e32 v[18:19], 8, v[64:65]
	s_or_b32 s26, s26, exec_lo
	s_delay_alu instid0(VALU_DEP_1)
	v_cmp_ge_u64_e64 s9, v[18:19], v[16:17]
	s_or_not1_b32 s25, s9, exec_lo
	s_branch .LBB4_84
.LBB4_91:                               ;   in Loop: Header=BB4_81 Depth=2
	s_or_b32 exec_lo, exec_lo, s19
	s_xor_b32 s9, s20, -1
	s_delay_alu instid0(SALU_CYCLE_1) | instskip(NEXT) | instid1(SALU_CYCLE_1)
	s_and_saveexec_b32 s19, s9
	s_xor_b32 s9, exec_lo, s19
	s_cbranch_execz .LBB4_93
; %bb.92:                               ;   in Loop: Header=BB4_81 Depth=2
	v_mov_b32_e32 v5, 1
	s_wait_storecnt 0x0
	s_wait_loadcnt_dscnt 0x0
	ds_store_b32 v0, v3
	s_trap 2
.LBB4_93:                               ;   in Loop: Header=BB4_81 Depth=2
	s_or_b32 exec_lo, exec_lo, s9
	v_mov_b32_e32 v61, v5
.LBB4_94:                               ;   in Loop: Header=BB4_81 Depth=2
	s_or_b32 exec_lo, exec_lo, s18
	s_and_saveexec_b32 s9, s2
	s_cbranch_execz .LBB4_96
; %bb.95:                               ;   in Loop: Header=BB4_81 Depth=2
	v_and_b32_e32 v18, 0x7ffffff8, v14
	v_dual_mov_b32 v19, v2 :: v_dual_bitop2_b32 v3, 7, v14 bitop3:0x40
	s_delay_alu instid0(VALU_DEP_1) | instskip(NEXT) | instid1(VALU_DEP_2)
	v_cmp_eq_u64_e32 vcc_lo, 0x7ffffff8, v[18:19]
	v_mad_nc_u64_u32 v[14:15], v3, 24, v[12:13]
	v_cndmask_b32_e64 v5, v114, s15, vcc_lo
	s_delay_alu instid0(VALU_DEP_1) | instskip(NEXT) | instid1(VALU_DEP_1)
	v_lshlrev_b32_e32 v18, 4, v5
	v_ashrrev_i32_e32 v19, 31, v18
	flat_store_b64 v[14:15], v[18:19] offset:8 scope:SCOPE_SYS
	s_wait_storecnt 0x0
.LBB4_96:                               ;   in Loop: Header=BB4_81 Depth=2
	s_wait_xcnt 0x0
	s_or_b32 exec_lo, exec_lo, s9
	v_mov_b64_e32 v[14:15], v[16:17]
.LBB4_97:                               ;   in Loop: Header=BB4_81 Depth=2
	s_or_b32 exec_lo, exec_lo, s10
	s_and_saveexec_b32 s9, s3
	s_cbranch_execz .LBB4_116
; %bb.98:                               ;   in Loop: Header=BB4_81 Depth=2
	s_and_saveexec_b32 s10, s4
	s_delay_alu instid0(SALU_CYCLE_1)
	s_xor_b32 s10, exec_lo, s10
	s_cbranch_execz .LBB4_113
; %bb.99:                               ;   in Loop: Header=BB4_81 Depth=2
	s_and_saveexec_b32 s18, s5
	s_cbranch_execz .LBB4_112
; %bb.100:                              ;   in Loop: Header=BB4_81 Depth=2
	s_mov_b32 s20, exec_lo
	s_mov_b32 s19, exec_lo
	v_mbcnt_lo_u32_b32 v3, s20, 0
	global_wb scope:SCOPE_DEV
	s_wait_storecnt 0x0
	s_wait_loadcnt_dscnt 0x0
	global_inv scope:SCOPE_DEV
	v_cmpx_eq_u32_e32 0, v3
	s_cbranch_execz .LBB4_102
; %bb.101:                              ;   in Loop: Header=BB4_81 Depth=2
	s_bcnt1_i32_b32 s20, s20
	s_delay_alu instid0(SALU_CYCLE_1)
	v_dual_mov_b32 v17, v2 :: v_dual_mov_b32 v16, s20
	s_wait_loadcnt 0x0
	ds_add_u64 v0, v[16:17]
	s_trap 2
.LBB4_102:                              ;   in Loop: Header=BB4_81 Depth=2
	s_or_b32 exec_lo, exec_lo, s19
	s_trap 2
	ds_load_b64 v[16:17], v0
	s_wait_dscnt 0x0
	v_add_nc_u64_e32 v[54:55], v[54:55], v[82:83]
	s_mov_b32 s19, exec_lo
	s_delay_alu instid0(VALU_DEP_1)
	v_cmpx_lt_u64_e64 v[16:17], v[54:55]
	s_cbranch_execz .LBB4_111
; %bb.103:                              ;   in Loop: Header=BB4_81 Depth=2
	s_mov_b32 s20, 0
	s_mov_b32 s23, 0
                                        ; implicit-def: $sgpr21
                                        ; implicit-def: $sgpr22
	s_branch .LBB4_105
.LBB4_104:                              ;   in Loop: Header=BB4_105 Depth=3
	s_or_b32 exec_lo, exec_lo, s25
	s_delay_alu instid0(SALU_CYCLE_1) | instskip(NEXT) | instid1(SALU_CYCLE_1)
	s_and_b32 s24, exec_lo, s26
	s_or_b32 s20, s24, s20
	s_and_not1_b32 s21, s21, exec_lo
	s_and_b32 s24, s22, exec_lo
	s_delay_alu instid0(SALU_CYCLE_1)
	s_or_b32 s21, s21, s24
	s_and_not1_b32 exec_lo, exec_lo, s20
	s_cbranch_execz .LBB4_109
.LBB4_105:                              ;   Parent Loop BB4_36 Depth=1
                                        ;     Parent Loop BB4_81 Depth=2
                                        ; =>    This Inner Loop Header: Depth=3
	s_add_co_i32 s23, s23, 1
	s_delay_alu instid0(SALU_CYCLE_1) | instskip(SKIP_1) | instid1(SALU_CYCLE_1)
	s_cmp_lg_u32 s23, 0x2710
	s_cselect_b32 s24, -1, 0
	s_and_b32 vcc_lo, exec_lo, s24
	s_cbranch_vccz .LBB4_107
; %bb.106:                              ;   in Loop: Header=BB4_105 Depth=3
	s_mov_b32 s26, -1
	s_or_b32 s22, s22, exec_lo
	s_and_saveexec_b32 s25, s24
	s_cbranch_execz .LBB4_104
	s_branch .LBB4_108
.LBB4_107:                              ;   in Loop: Header=BB4_105 Depth=3
	s_trap 2
	ds_load_b64 v[16:17], v0
	s_and_not1_b32 s24, s24, exec_lo
	s_mov_b32 s23, 0
	s_wait_loadcnt_dscnt 0x0
	flat_load_b32 v3, v[16:17] scope:SCOPE_SYS
	s_wait_loadcnt_dscnt 0x0
	global_inv scope:SCOPE_SYS
	v_cmp_eq_u32_e32 vcc_lo, 0, v3
	s_and_b32 s25, vcc_lo, exec_lo
	s_delay_alu instid0(SALU_CYCLE_1)
	s_or_b32 s24, s24, s25
	s_mov_b32 s26, -1
	s_or_b32 s22, s22, exec_lo
	s_wait_xcnt 0x0
	s_and_saveexec_b32 s25, s24
	s_cbranch_execz .LBB4_104
.LBB4_108:                              ;   in Loop: Header=BB4_105 Depth=3
	s_sleep 1
	s_trap 2
	ds_load_b64 v[16:17], v0
	s_wait_dscnt 0x0
	s_and_not1_b32 s22, s22, exec_lo
	v_cmp_ge_u64_e32 vcc_lo, v[16:17], v[54:55]
	s_or_not1_b32 s26, vcc_lo, exec_lo
	s_branch .LBB4_104
.LBB4_109:                              ;   in Loop: Header=BB4_81 Depth=2
	s_or_b32 exec_lo, exec_lo, s20
	s_and_saveexec_b32 s20, s21
	s_delay_alu instid0(SALU_CYCLE_1)
	s_xor_b32 s20, exec_lo, s20
	s_cbranch_execz .LBB4_111
; %bb.110:                              ;   in Loop: Header=BB4_81 Depth=2
	ds_store_b32 v0, v60
	s_trap 2
.LBB4_111:                              ;   in Loop: Header=BB4_81 Depth=2
	s_or_b32 exec_lo, exec_lo, s19
	;;#ASMSTART
	s_wakeup
	;;#ASMEND
.LBB4_112:                              ;   in Loop: Header=BB4_81 Depth=2
	s_or_b32 exec_lo, exec_lo, s18
.LBB4_113:                              ;   in Loop: Header=BB4_81 Depth=2
	s_and_not1_saveexec_b32 s10, s10
	s_cbranch_execz .LBB4_115
; %bb.114:                              ;   in Loop: Header=BB4_81 Depth=2
	global_wb scope:SCOPE_DEV
	s_wait_storecnt 0x0
	s_wait_loadcnt_dscnt 0x0
	global_inv scope:SCOPE_DEV
	s_barrier_signal -1
	s_barrier_wait -1
.LBB4_115:                              ;   in Loop: Header=BB4_81 Depth=2
	s_or_b32 exec_lo, exec_lo, s10
.LBB4_116:                              ;   in Loop: Header=BB4_81 Depth=2
	s_delay_alu instid0(SALU_CYCLE_1)
	s_or_b32 exec_lo, exec_lo, s9
	v_dual_mov_b32 v42, v0 :: v_dual_add_nc_u32 v17, 1, v118
	s_and_saveexec_b32 s18, s8
	s_cbranch_execnz .LBB4_123
; %bb.117:                              ;   in Loop: Header=BB4_81 Depth=2
	s_or_b32 exec_lo, exec_lo, s18
	s_and_saveexec_b32 s9, s3
	s_cbranch_execnz .LBB4_140
.LBB4_118:                              ;   in Loop: Header=BB4_81 Depth=2
	s_or_b32 exec_lo, exec_lo, s9
	s_and_saveexec_b32 s9, s6
	s_cbranch_execz .LBB4_120
.LBB4_119:                              ;   in Loop: Header=BB4_81 Depth=2
	v_add_nc_u64_e32 v[48:49], 1, v[48:49]
	global_wb scope:SCOPE_SYS
	s_wait_storecnt 0x0
	s_wait_loadcnt_dscnt 0x0
	flat_store_b64 v[50:51], v[48:49] scope:SCOPE_SYS
.LBB4_120:                              ;   in Loop: Header=BB4_81 Depth=2
	s_wait_xcnt 0x0
	s_or_b32 exec_lo, exec_lo, s9
	s_wait_loadcnt_dscnt 0x0
	v_and_b32_e32 v4, 0x7ffffff8, v118
	v_mov_b32_e32 v5, v2
	v_cmp_gt_i32_e64 s9, s15, v42
	s_delay_alu instid0(VALU_DEP_2) | instskip(SKIP_1) | instid1(SALU_CYCLE_1)
	v_cmp_eq_u64_e32 vcc_lo, 0x7ffffff8, v[4:5]
	s_and_b32 s10, vcc_lo, s9
	s_and_saveexec_b32 s9, s10
	s_cbranch_execz .LBB4_80
; %bb.121:                              ;   in Loop: Header=BB4_81 Depth=2
	v_dual_ashrrev_i32 v43, 31, v42 :: v_dual_bitop2_b32 v3, 7, v115 bitop3:0x40
	s_mov_b32 s10, 0
	s_delay_alu instid0(VALU_DEP_1) | instskip(NEXT) | instid1(VALU_DEP_1)
	v_mul_lo_u32 v4, s15, v3
	v_dual_mov_b32 v3, v17 :: v_dual_ashrrev_i32 v5, 31, v4
	s_delay_alu instid0(VALU_DEP_1) | instskip(NEXT) | instid1(VALU_DEP_1)
	v_lshlrev_b64_e32 v[4:5], 4, v[4:5]
	v_lshl_add_u64 v[4:5], v[42:43], 4, v[4:5]
	s_delay_alu instid0(VALU_DEP_1)
	v_add_nc_u64_e32 v[18:19], v[38:39], v[4:5]
.LBB4_122:                              ;   Parent Loop BB4_36 Depth=1
                                        ;     Parent Loop BB4_81 Depth=2
                                        ; =>    This Inner Loop Header: Depth=3
	s_delay_alu instid0(VALU_DEP_4)
	v_dual_mov_b32 v4, v2 :: v_dual_mov_b32 v5, v3
	v_add_nc_u32_e32 v42, v42, v22
	global_store_b128 v[18:19], v[2:5], off
	v_cmp_le_i32_e32 vcc_lo, s15, v42
	s_wait_xcnt 0x0
	v_add_nc_u64_e32 v[18:19], v[18:19], v[102:103]
	s_or_b32 s10, vcc_lo, s10
	s_delay_alu instid0(SALU_CYCLE_1)
	s_and_not1_b32 exec_lo, exec_lo, s10
	s_cbranch_execnz .LBB4_122
	s_branch .LBB4_80
.LBB4_123:                              ;   in Loop: Header=BB4_81 Depth=2
	s_wait_loadcnt_dscnt 0x0
	v_dual_mov_b32 v72, v61 :: v_dual_ashrrev_i32 v5, 31, v4
	v_dual_mov_b32 v63, v62 :: v_dual_bitop2_b32 v3, 7, v36 bitop3:0x40
	s_mov_b32 s19, 0
	s_delay_alu instid0(VALU_DEP_2) | instskip(SKIP_1) | instid1(VALU_DEP_3)
	v_mul_u64_e32 v[18:19], v[68:69], v[4:5]
	v_and_b32_e32 v5, 7, v118
	v_mul_lo_u32 v4, v3, s15
	v_dual_mov_b32 v42, v0 :: v_dual_add_nc_u32 v3, 1, v36
	s_delay_alu instid0(VALU_DEP_3) | instskip(NEXT) | instid1(VALU_DEP_3)
	v_mul_lo_u32 v20, v5, s15
	v_ashrrev_i32_e32 v5, 31, v4
	s_delay_alu instid0(VALU_DEP_2) | instskip(NEXT) | instid1(VALU_DEP_2)
	v_ashrrev_i32_e32 v21, 31, v20
	v_lshl_add_u64 v[4:5], v[4:5], 4, v[34:35]
	s_delay_alu instid0(VALU_DEP_2)
	v_lshl_add_u64 v[44:45], v[20:21], 4, v[38:39]
	v_lshl_add_u64 v[46:47], v[18:19], 3, v[40:41]
	s_branch .LBB4_127
.LBB4_124:                              ;   in Loop: Header=BB4_127 Depth=3
	s_or_b32 exec_lo, exec_lo, s9
.LBB4_125:                              ;   in Loop: Header=BB4_127 Depth=3
	s_delay_alu instid0(SALU_CYCLE_1)
	s_or_b32 exec_lo, exec_lo, s21
.LBB4_126:                              ;   in Loop: Header=BB4_127 Depth=3
	s_delay_alu instid0(SALU_CYCLE_1)
	s_or_b32 exec_lo, exec_lo, s20
	s_wait_loadcnt 0x0
	v_dual_mov_b32 v19, v20 :: v_dual_sub_nc_u32 v63, v63, v22
	v_lshl_add_u64 v[46:47], v[22:23], 3, v[46:47]
	v_lshl_add_u64 v[20:21], v[42:43], 4, v[44:45]
	v_add_nc_u32_e32 v42, v42, v22
	s_delay_alu instid0(VALU_DEP_4) | instskip(SKIP_2) | instid1(VALU_DEP_2)
	v_mul_f64_e32 v[18:19], v[56:57], v[18:19]
	v_cmp_gt_i32_e32 vcc_lo, 1, v63
	s_or_b32 s19, vcc_lo, s19
	v_dual_mov_b32 v16, v18 :: v_dual_mov_b32 v18, v19
	v_mov_b32_e32 v19, v17
	global_store_b128 v[20:21], v[16:19], off
	s_wait_xcnt 0x0
	s_and_not1_b32 exec_lo, exec_lo, s19
	s_cbranch_execz .LBB4_139
.LBB4_127:                              ;   Parent Loop BB4_36 Depth=1
                                        ;     Parent Loop BB4_81 Depth=2
                                        ; =>    This Loop Header: Depth=3
                                        ;         Child Loop BB4_132 Depth 4
	v_ashrrev_i32_e32 v43, 31, v42
	s_mov_b32 s20, exec_lo
	s_delay_alu instid0(VALU_DEP_1)
	v_lshl_add_u64 v[58:59], v[42:43], 4, v[4:5]
	global_load_b64 v[56:57], v[46:47], off th:TH_LOAD_NT
	global_load_b128 v[18:21], v[58:59], off th:TH_LOAD_NT
	s_wait_xcnt 0x0
	v_cmpx_eq_u32_e32 0, v72
	s_cbranch_execz .LBB4_126
; %bb.128:                              ;   in Loop: Header=BB4_127 Depth=3
	s_wait_loadcnt 0x0
	v_cmp_ne_u32_e32 vcc_lo, v3, v19
	v_cmp_ne_u32_e64 s9, v3, v21
	v_mov_b32_e32 v72, 0
	s_or_b32 s9, vcc_lo, s9
	s_delay_alu instid0(SALU_CYCLE_1)
	s_and_saveexec_b32 s21, s9
	s_cbranch_execz .LBB4_125
; %bb.129:                              ;   in Loop: Header=BB4_127 Depth=3
	v_cmp_eq_u32_e64 s9, 0, v61
	v_mov_b32_e32 v72, 0
	s_mov_b32 s22, 0
	s_mov_b32 s25, 1
                                        ; implicit-def: $sgpr23
                                        ; implicit-def: $sgpr24
	s_branch .LBB4_132
.LBB4_130:                              ;   in Loop: Header=BB4_132 Depth=4
	s_or_b32 exec_lo, exec_lo, s26
	s_delay_alu instid0(SALU_CYCLE_1)
	s_and_not1_b32 s24, s24, exec_lo
	s_or_not1_b32 s10, s10, exec_lo
.LBB4_131:                              ;   in Loop: Header=BB4_132 Depth=4
	s_or_b32 exec_lo, exec_lo, s28
	s_delay_alu instid0(SALU_CYCLE_1) | instskip(NEXT) | instid1(SALU_CYCLE_1)
	s_and_b32 s10, exec_lo, s10
	s_or_b32 s22, s10, s22
	s_and_not1_b32 s10, s23, exec_lo
	s_and_b32 s23, s24, exec_lo
	s_delay_alu instid0(SALU_CYCLE_1)
	s_or_b32 s23, s10, s23
	s_and_not1_b32 exec_lo, exec_lo, s22
	s_cbranch_execz .LBB4_137
.LBB4_132:                              ;   Parent Loop BB4_36 Depth=1
                                        ;     Parent Loop BB4_81 Depth=2
                                        ;       Parent Loop BB4_127 Depth=3
                                        ; =>      This Inner Loop Header: Depth=4
	s_wait_loadcnt 0x0
	global_load_b128 v[18:21], v[58:59], off th:TH_LOAD_NT
	s_add_co_i32 s25, s25, 1
	s_mov_b32 s10, -1
	s_cmp_lg_u32 s25, 0x2710
	s_mov_b32 s27, -1
	s_cselect_b32 s26, -1, 0
                                        ; implicit-def: $vgpr16
	s_delay_alu instid0(SALU_CYCLE_1)
	s_and_b32 vcc_lo, exec_lo, s26
	s_cbranch_vccz .LBB4_134
; %bb.133:                              ;   in Loop: Header=BB4_132 Depth=4
	s_or_b32 s24, s24, exec_lo
	s_wait_xcnt 0x0
	s_and_saveexec_b32 s28, s26
	s_cbranch_execz .LBB4_131
	s_branch .LBB4_135
.LBB4_134:                              ;   in Loop: Header=BB4_132 Depth=4
	s_trap 2
	ds_load_b64 v[72:73], v0
	s_and_not1_b32 s26, s26, exec_lo
	s_mov_b32 s25, 0
	s_or_not1_b32 s27, s9, exec_lo
	s_wait_storecnt 0x0
	s_wait_loadcnt_dscnt 0x0
	flat_load_b32 v16, v[72:73] scope:SCOPE_SYS
	s_wait_loadcnt_dscnt 0x0
	global_inv scope:SCOPE_SYS
	s_wait_xcnt 0x0
	v_mov_b32_e32 v72, v61
	v_cmp_eq_u32_e32 vcc_lo, 0, v16
	s_and_b32 s28, vcc_lo, exec_lo
	s_delay_alu instid0(SALU_CYCLE_1)
	s_or_b32 s26, s26, s28
	s_or_b32 s24, s24, exec_lo
	s_and_saveexec_b32 s28, s26
	s_cbranch_execz .LBB4_131
.LBB4_135:                              ;   in Loop: Header=BB4_132 Depth=4
	s_and_saveexec_b32 s26, s27
	s_cbranch_execz .LBB4_130
; %bb.136:                              ;   in Loop: Header=BB4_132 Depth=4
	s_wait_loadcnt 0x0
	v_cmp_eq_u32_e32 vcc_lo, v3, v19
	v_cmp_eq_u32_e64 s10, v3, v21
	s_and_b32 s10, vcc_lo, s10
	s_delay_alu instid0(SALU_CYCLE_1)
	s_or_not1_b32 s10, s10, exec_lo
	s_branch .LBB4_130
.LBB4_137:                              ;   in Loop: Header=BB4_127 Depth=3
	s_or_b32 exec_lo, exec_lo, s22
	s_and_saveexec_b32 s9, s23
	s_delay_alu instid0(SALU_CYCLE_1)
	s_xor_b32 s9, exec_lo, s9
	s_cbranch_execz .LBB4_124
; %bb.138:                              ;   in Loop: Header=BB4_127 Depth=3
	v_or_b32_e32 v72, 1, v61
	s_wait_loadcnt 0x0
	s_wait_storecnt 0x0
	ds_store_b32 v0, v16
	s_trap 2
	v_mov_b32_e32 v61, v72
	s_branch .LBB4_124
.LBB4_139:                              ;   in Loop: Header=BB4_81 Depth=2
	s_or_b32 exec_lo, exec_lo, s19
	s_delay_alu instid0(SALU_CYCLE_1)
	s_or_b32 exec_lo, exec_lo, s18
	s_and_saveexec_b32 s9, s3
	s_cbranch_execz .LBB4_118
.LBB4_140:                              ;   in Loop: Header=BB4_81 Depth=2
	s_and_saveexec_b32 s10, s4
	s_delay_alu instid0(SALU_CYCLE_1)
	s_xor_b32 s10, exec_lo, s10
	s_cbranch_execz .LBB4_155
; %bb.141:                              ;   in Loop: Header=BB4_81 Depth=2
	s_and_saveexec_b32 s18, s5
	s_cbranch_execz .LBB4_154
; %bb.142:                              ;   in Loop: Header=BB4_81 Depth=2
	s_mov_b32 s20, exec_lo
	s_mov_b32 s19, exec_lo
	v_mbcnt_lo_u32_b32 v3, s20, 0
	global_wb scope:SCOPE_DEV
	s_wait_storecnt 0x0
	s_wait_loadcnt_dscnt 0x0
	global_inv scope:SCOPE_DEV
	v_cmpx_eq_u32_e32 0, v3
	s_cbranch_execz .LBB4_144
; %bb.143:                              ;   in Loop: Header=BB4_81 Depth=2
	s_bcnt1_i32_b32 s20, s20
	s_delay_alu instid0(SALU_CYCLE_1)
	v_dual_mov_b32 v5, v2 :: v_dual_mov_b32 v4, s20
	s_wait_loadcnt 0x0
	ds_add_u64 v0, v[4:5]
	s_trap 2
.LBB4_144:                              ;   in Loop: Header=BB4_81 Depth=2
	s_or_b32 exec_lo, exec_lo, s19
	s_trap 2
	ds_load_b64 v[4:5], v0
	s_wait_dscnt 0x0
	v_add_nc_u64_e32 v[54:55], v[54:55], v[82:83]
	s_mov_b32 s19, exec_lo
	s_delay_alu instid0(VALU_DEP_1)
	v_cmpx_lt_u64_e64 v[4:5], v[54:55]
	s_cbranch_execz .LBB4_153
; %bb.145:                              ;   in Loop: Header=BB4_81 Depth=2
	s_mov_b32 s20, 0
	s_mov_b32 s23, 0
                                        ; implicit-def: $sgpr21
                                        ; implicit-def: $sgpr22
	s_branch .LBB4_147
.LBB4_146:                              ;   in Loop: Header=BB4_147 Depth=3
	s_or_b32 exec_lo, exec_lo, s25
	s_delay_alu instid0(SALU_CYCLE_1) | instskip(NEXT) | instid1(SALU_CYCLE_1)
	s_and_b32 s24, exec_lo, s26
	s_or_b32 s20, s24, s20
	s_and_not1_b32 s21, s21, exec_lo
	s_and_b32 s24, s22, exec_lo
	s_delay_alu instid0(SALU_CYCLE_1)
	s_or_b32 s21, s21, s24
	s_and_not1_b32 exec_lo, exec_lo, s20
	s_cbranch_execz .LBB4_151
.LBB4_147:                              ;   Parent Loop BB4_36 Depth=1
                                        ;     Parent Loop BB4_81 Depth=2
                                        ; =>    This Inner Loop Header: Depth=3
	s_add_co_i32 s23, s23, 1
	s_delay_alu instid0(SALU_CYCLE_1) | instskip(SKIP_1) | instid1(SALU_CYCLE_1)
	s_cmp_lg_u32 s23, 0x2710
	s_cselect_b32 s24, -1, 0
	s_and_b32 vcc_lo, exec_lo, s24
	s_cbranch_vccz .LBB4_149
; %bb.148:                              ;   in Loop: Header=BB4_147 Depth=3
	s_mov_b32 s26, -1
	s_or_b32 s22, s22, exec_lo
	s_and_saveexec_b32 s25, s24
	s_cbranch_execz .LBB4_146
	s_branch .LBB4_150
.LBB4_149:                              ;   in Loop: Header=BB4_147 Depth=3
	s_trap 2
	ds_load_b64 v[4:5], v0
	s_and_not1_b32 s24, s24, exec_lo
	s_mov_b32 s23, 0
	s_wait_loadcnt_dscnt 0x0
	flat_load_b32 v3, v[4:5] scope:SCOPE_SYS
	s_wait_loadcnt_dscnt 0x0
	global_inv scope:SCOPE_SYS
	v_cmp_eq_u32_e32 vcc_lo, 0, v3
	s_and_b32 s25, vcc_lo, exec_lo
	s_delay_alu instid0(SALU_CYCLE_1)
	s_or_b32 s24, s24, s25
	s_mov_b32 s26, -1
	s_or_b32 s22, s22, exec_lo
	s_wait_xcnt 0x0
	s_and_saveexec_b32 s25, s24
	s_cbranch_execz .LBB4_146
.LBB4_150:                              ;   in Loop: Header=BB4_147 Depth=3
	s_sleep 1
	s_trap 2
	ds_load_b64 v[4:5], v0
	s_wait_dscnt 0x0
	s_and_not1_b32 s22, s22, exec_lo
	v_cmp_ge_u64_e32 vcc_lo, v[4:5], v[54:55]
	s_or_not1_b32 s26, vcc_lo, exec_lo
	s_branch .LBB4_146
.LBB4_151:                              ;   in Loop: Header=BB4_81 Depth=2
	s_or_b32 exec_lo, exec_lo, s20
	s_and_saveexec_b32 s20, s21
	s_delay_alu instid0(SALU_CYCLE_1)
	s_xor_b32 s20, exec_lo, s20
	s_cbranch_execz .LBB4_153
; %bb.152:                              ;   in Loop: Header=BB4_81 Depth=2
	ds_store_b32 v0, v60
	s_trap 2
.LBB4_153:                              ;   in Loop: Header=BB4_81 Depth=2
	s_or_b32 exec_lo, exec_lo, s19
	;;#ASMSTART
	s_wakeup
	;;#ASMEND
.LBB4_154:                              ;   in Loop: Header=BB4_81 Depth=2
	s_or_b32 exec_lo, exec_lo, s18
.LBB4_155:                              ;   in Loop: Header=BB4_81 Depth=2
	s_and_not1_saveexec_b32 s10, s10
	s_cbranch_execz .LBB4_157
; %bb.156:                              ;   in Loop: Header=BB4_81 Depth=2
	global_wb scope:SCOPE_DEV
	s_wait_storecnt 0x0
	s_wait_loadcnt_dscnt 0x0
	global_inv scope:SCOPE_DEV
	s_barrier_signal -1
	s_barrier_wait -1
.LBB4_157:                              ;   in Loop: Header=BB4_81 Depth=2
	s_or_b32 exec_lo, exec_lo, s10
	s_delay_alu instid0(SALU_CYCLE_1)
	s_or_b32 exec_lo, exec_lo, s9
	s_and_saveexec_b32 s9, s6
	s_cbranch_execnz .LBB4_119
	s_branch .LBB4_120
.LBB4_158:                              ;   in Loop: Header=BB4_36 Depth=1
	s_delay_alu instid0(VALU_DEP_1)
	v_mov_b64_e32 v[20:21], v[118:119]
	s_and_saveexec_b32 s10, s8
	s_cbranch_execnz .LBB4_161
; %bb.159:                              ;   in Loop: Header=BB4_36 Depth=1
	s_or_b32 exec_lo, exec_lo, s10
	s_and_saveexec_b32 s8, s3
	s_cbranch_execnz .LBB4_182
.LBB4_160:                              ;   in Loop: Header=BB4_36 Depth=1
	s_or_b32 exec_lo, exec_lo, s8
	s_and_saveexec_b32 s8, s6
	s_cbranch_execz .LBB4_35
	s_branch .LBB4_200
.LBB4_161:                              ;   in Loop: Header=BB4_36 Depth=1
	flat_load_b32 v4, v[24:25]
	s_wait_loadcnt_dscnt 0x101
	v_dual_mov_b32 v44, v61 :: v_dual_bitop2_b32 v3, 7, v36 bitop3:0x40
	v_lshlrev_b64_e32 v[16:17], 3, v[116:117]
	s_mov_b32 s17, 0
	v_mov_b32_e32 v118, v0
	s_delay_alu instid0(VALU_DEP_3) | instskip(SKIP_1) | instid1(VALU_DEP_4)
	v_mul_lo_u32 v18, v3, s15
	v_add_nc_u32_e32 v3, 1, v36
	v_add_nc_u64_e32 v[114:115], v[10:11], v[16:17]
	s_wait_loadcnt_dscnt 0x0
	s_delay_alu instid0(VALU_DEP_3) | instskip(NEXT) | instid1(VALU_DEP_1)
	v_dual_ashrrev_i32 v19, 31, v18 :: v_dual_ashrrev_i32 v5, 31, v4
	v_mul_u64_e32 v[4:5], v[68:69], v[4:5]
	s_delay_alu instid0(VALU_DEP_1) | instskip(SKIP_1) | instid1(VALU_DEP_4)
	v_lshl_add_u64 v[116:117], v[4:5], 3, v[114:115]
	v_add_nc_u64_e32 v[4:5], v[8:9], v[16:17]
	v_lshl_add_u64 v[114:115], v[18:19], 4, v[34:35]
	s_delay_alu instid0(VALU_DEP_3)
	v_lshl_add_u64 v[116:117], v[0:1], 3, v[116:117]
	s_branch .LBB4_163
.LBB4_162:                              ;   in Loop: Header=BB4_163 Depth=2
	v_sub_nc_u32_e32 v62, v62, v22
	v_add_nc_u64_e32 v[116:117], v[116:117], v[100:101]
	s_wait_xcnt 0x0
	v_add_nc_u64_e32 v[4:5], v[4:5], v[100:101]
	v_add_nc_u32_e32 v118, v118, v22
	v_cmp_gt_i32_e32 vcc_lo, 1, v62
	s_or_b32 s17, vcc_lo, s17
	s_delay_alu instid0(SALU_CYCLE_1)
	s_and_not1_b32 exec_lo, exec_lo, s17
	s_cbranch_execz .LBB4_181
.LBB4_163:                              ;   Parent Loop BB4_36 Depth=1
                                        ; =>  This Loop Header: Depth=2
                                        ;       Child Loop BB4_168 Depth 3
	v_ashrrev_i32_e32 v119, 31, v118
	s_mov_b32 s18, exec_lo
	s_delay_alu instid0(VALU_DEP_1)
	v_lshl_add_u64 v[42:43], v[118:119], 4, v[114:115]
	global_load_b64 v[40:41], v[116:117], off th:TH_LOAD_NT
	global_load_b128 v[16:19], v[42:43], off th:TH_LOAD_NT
	s_wait_xcnt 0x0
	v_cmpx_eq_u32_e32 0, v44
	s_cbranch_execz .LBB4_177
; %bb.164:                              ;   in Loop: Header=BB4_163 Depth=2
	s_wait_loadcnt 0x0
	v_cmp_ne_u32_e32 vcc_lo, v3, v17
	v_cmp_ne_u32_e64 s8, v3, v19
	v_mov_b32_e32 v44, 0
	s_or_b32 s8, vcc_lo, s8
	s_delay_alu instid0(SALU_CYCLE_1)
	s_and_saveexec_b32 s19, s8
	s_cbranch_execz .LBB4_176
; %bb.165:                              ;   in Loop: Header=BB4_163 Depth=2
	v_cmp_eq_u32_e64 s8, 0, v61
	v_mov_b32_e32 v44, 0
	s_mov_b32 s20, 0
	s_mov_b32 s23, 1
                                        ; implicit-def: $sgpr21
                                        ; implicit-def: $sgpr22
	s_branch .LBB4_168
.LBB4_166:                              ;   in Loop: Header=BB4_168 Depth=3
	s_or_b32 exec_lo, exec_lo, s24
	s_delay_alu instid0(SALU_CYCLE_1)
	s_and_not1_b32 s22, s22, exec_lo
	s_or_not1_b32 s9, s9, exec_lo
.LBB4_167:                              ;   in Loop: Header=BB4_168 Depth=3
	s_or_b32 exec_lo, exec_lo, s26
	s_delay_alu instid0(SALU_CYCLE_1) | instskip(NEXT) | instid1(SALU_CYCLE_1)
	s_and_b32 s9, exec_lo, s9
	s_or_b32 s20, s9, s20
	s_and_not1_b32 s9, s21, exec_lo
	s_and_b32 s21, s22, exec_lo
	s_delay_alu instid0(SALU_CYCLE_1)
	s_or_b32 s21, s9, s21
	s_and_not1_b32 exec_lo, exec_lo, s20
	s_cbranch_execz .LBB4_173
.LBB4_168:                              ;   Parent Loop BB4_36 Depth=1
                                        ;     Parent Loop BB4_163 Depth=2
                                        ; =>    This Inner Loop Header: Depth=3
	s_wait_loadcnt 0x0
	global_load_b128 v[16:19], v[42:43], off th:TH_LOAD_NT
	s_add_co_i32 s23, s23, 1
	s_mov_b32 s9, -1
	s_cmp_lg_u32 s23, 0x2710
	s_mov_b32 s25, -1
	s_cselect_b32 s24, -1, 0
                                        ; implicit-def: $vgpr119
	s_delay_alu instid0(SALU_CYCLE_1)
	s_and_b32 vcc_lo, exec_lo, s24
	s_cbranch_vccz .LBB4_170
; %bb.169:                              ;   in Loop: Header=BB4_168 Depth=3
	s_or_b32 s22, s22, exec_lo
	s_wait_xcnt 0x0
	s_and_saveexec_b32 s26, s24
	s_cbranch_execz .LBB4_167
	s_branch .LBB4_171
.LBB4_170:                              ;   in Loop: Header=BB4_168 Depth=3
	s_trap 2
	ds_load_b64 v[44:45], v0
	s_and_not1_b32 s24, s24, exec_lo
	s_mov_b32 s23, 0
	s_or_not1_b32 s25, s8, exec_lo
	s_wait_storecnt 0x0
	s_wait_loadcnt_dscnt 0x0
	flat_load_b32 v119, v[44:45] scope:SCOPE_SYS
	s_wait_loadcnt_dscnt 0x0
	global_inv scope:SCOPE_SYS
	s_wait_xcnt 0x0
	v_mov_b32_e32 v44, v61
	v_cmp_eq_u32_e32 vcc_lo, 0, v119
	s_and_b32 s26, vcc_lo, exec_lo
	s_delay_alu instid0(SALU_CYCLE_1)
	s_or_b32 s24, s24, s26
	s_or_b32 s22, s22, exec_lo
	s_and_saveexec_b32 s26, s24
	s_cbranch_execz .LBB4_167
.LBB4_171:                              ;   in Loop: Header=BB4_168 Depth=3
	s_and_saveexec_b32 s24, s25
	s_cbranch_execz .LBB4_166
; %bb.172:                              ;   in Loop: Header=BB4_168 Depth=3
	s_wait_loadcnt 0x0
	v_cmp_eq_u32_e32 vcc_lo, v3, v17
	v_cmp_eq_u32_e64 s9, v3, v19
	s_and_b32 s9, vcc_lo, s9
	s_delay_alu instid0(SALU_CYCLE_1)
	s_or_not1_b32 s9, s9, exec_lo
	s_branch .LBB4_166
.LBB4_173:                              ;   in Loop: Header=BB4_163 Depth=2
	s_or_b32 exec_lo, exec_lo, s20
	s_and_saveexec_b32 s8, s21
	s_delay_alu instid0(SALU_CYCLE_1)
	s_xor_b32 s8, exec_lo, s8
	s_cbranch_execz .LBB4_175
; %bb.174:                              ;   in Loop: Header=BB4_163 Depth=2
	v_or_b32_e32 v44, 1, v61
	s_wait_loadcnt 0x0
	s_wait_storecnt 0x0
	ds_store_b32 v0, v119
	s_trap 2
	v_mov_b32_e32 v61, v44
.LBB4_175:                              ;   in Loop: Header=BB4_163 Depth=2
	s_or_b32 exec_lo, exec_lo, s8
.LBB4_176:                              ;   in Loop: Header=BB4_163 Depth=2
	s_delay_alu instid0(SALU_CYCLE_1)
	s_or_b32 exec_lo, exec_lo, s19
.LBB4_177:                              ;   in Loop: Header=BB4_163 Depth=2
	s_delay_alu instid0(SALU_CYCLE_1) | instskip(SKIP_4) | instid1(VALU_DEP_2)
	s_or_b32 exec_lo, exec_lo, s18
	s_wait_loadcnt 0x0
	v_mov_b32_e32 v17, v18
	v_cndmask_b32_e64 v18, 0, 1, s7
	s_mov_b32 s8, -1
	v_mul_f64_e32 v[16:17], v[40:41], v[16:17]
	s_delay_alu instid0(VALU_DEP_2)
	v_cmp_ne_u32_e32 vcc_lo, 0, v18
	s_cmp_eq_u32 vcc_lo, exec_lo
	s_cbranch_scc1 .LBB4_179
; %bb.178:                              ;   in Loop: Header=BB4_163 Depth=2
	s_mov_b32 s8, 0
	flat_store_b64 v[4:5], v[16:17]
.LBB4_179:                              ;   in Loop: Header=BB4_163 Depth=2
	s_and_not1_b32 vcc_lo, exec_lo, s8
	s_cbranch_vccnz .LBB4_162
; %bb.180:                              ;   in Loop: Header=BB4_163 Depth=2
	global_store_b64 v[4:5], v[16:17], off
	s_branch .LBB4_162
.LBB4_181:                              ;   in Loop: Header=BB4_36 Depth=1
	s_or_b32 exec_lo, exec_lo, s17
	s_delay_alu instid0(SALU_CYCLE_1)
	s_or_b32 exec_lo, exec_lo, s10
	s_and_saveexec_b32 s8, s3
	s_cbranch_execz .LBB4_160
.LBB4_182:                              ;   in Loop: Header=BB4_36 Depth=1
	s_and_saveexec_b32 s9, s4
	s_delay_alu instid0(SALU_CYCLE_1)
	s_xor_b32 s9, exec_lo, s9
	s_cbranch_execz .LBB4_197
; %bb.183:                              ;   in Loop: Header=BB4_36 Depth=1
	s_and_saveexec_b32 s10, s5
	s_cbranch_execz .LBB4_196
; %bb.184:                              ;   in Loop: Header=BB4_36 Depth=1
	s_mov_b32 s18, exec_lo
	s_mov_b32 s17, exec_lo
	s_wait_loadcnt_dscnt 0x0
	v_mbcnt_lo_u32_b32 v3, s18, 0
	global_wb scope:SCOPE_DEV
	s_wait_storecnt 0x0
	global_inv scope:SCOPE_DEV
	v_cmpx_eq_u32_e32 0, v3
	s_cbranch_execz .LBB4_186
; %bb.185:                              ;   in Loop: Header=BB4_36 Depth=1
	s_bcnt1_i32_b32 s18, s18
	s_delay_alu instid0(SALU_CYCLE_1)
	v_dual_mov_b32 v5, v2 :: v_dual_mov_b32 v4, s18
	s_wait_loadcnt 0x0
	ds_add_u64 v0, v[4:5]
	s_trap 2
.LBB4_186:                              ;   in Loop: Header=BB4_36 Depth=1
	s_or_b32 exec_lo, exec_lo, s17
	s_trap 2
	ds_load_b64 v[4:5], v0
	s_wait_dscnt 0x0
	v_add_nc_u64_e32 v[54:55], v[54:55], v[82:83]
	s_mov_b32 s17, exec_lo
	s_delay_alu instid0(VALU_DEP_1)
	v_cmpx_lt_u64_e64 v[4:5], v[54:55]
	s_cbranch_execz .LBB4_195
; %bb.187:                              ;   in Loop: Header=BB4_36 Depth=1
	s_mov_b32 s18, 0
	s_mov_b32 s21, 0
                                        ; implicit-def: $sgpr19
                                        ; implicit-def: $sgpr20
	s_branch .LBB4_189
.LBB4_188:                              ;   in Loop: Header=BB4_189 Depth=2
	s_or_b32 exec_lo, exec_lo, s23
	s_delay_alu instid0(SALU_CYCLE_1) | instskip(NEXT) | instid1(SALU_CYCLE_1)
	s_and_b32 s22, exec_lo, s24
	s_or_b32 s18, s22, s18
	s_and_not1_b32 s19, s19, exec_lo
	s_and_b32 s22, s20, exec_lo
	s_delay_alu instid0(SALU_CYCLE_1)
	s_or_b32 s19, s19, s22
	s_and_not1_b32 exec_lo, exec_lo, s18
	s_cbranch_execz .LBB4_193
.LBB4_189:                              ;   Parent Loop BB4_36 Depth=1
                                        ; =>  This Inner Loop Header: Depth=2
	s_add_co_i32 s21, s21, 1
	s_delay_alu instid0(SALU_CYCLE_1) | instskip(SKIP_1) | instid1(SALU_CYCLE_1)
	s_cmp_lg_u32 s21, 0x2710
	s_cselect_b32 s22, -1, 0
	s_and_b32 vcc_lo, exec_lo, s22
	s_cbranch_vccz .LBB4_191
; %bb.190:                              ;   in Loop: Header=BB4_189 Depth=2
	s_mov_b32 s24, -1
	s_or_b32 s20, s20, exec_lo
	s_and_saveexec_b32 s23, s22
	s_cbranch_execz .LBB4_188
	s_branch .LBB4_192
.LBB4_191:                              ;   in Loop: Header=BB4_189 Depth=2
	s_trap 2
	ds_load_b64 v[4:5], v0
	s_and_not1_b32 s22, s22, exec_lo
	s_mov_b32 s21, 0
	s_wait_loadcnt_dscnt 0x0
	flat_load_b32 v3, v[4:5] scope:SCOPE_SYS
	s_wait_loadcnt_dscnt 0x0
	global_inv scope:SCOPE_SYS
	v_cmp_eq_u32_e32 vcc_lo, 0, v3
	s_and_b32 s23, vcc_lo, exec_lo
	s_delay_alu instid0(SALU_CYCLE_1)
	s_or_b32 s22, s22, s23
	s_mov_b32 s24, -1
	s_or_b32 s20, s20, exec_lo
	s_and_saveexec_b32 s23, s22
	s_cbranch_execz .LBB4_188
.LBB4_192:                              ;   in Loop: Header=BB4_189 Depth=2
	s_sleep 1
	s_trap 2
	ds_load_b64 v[4:5], v0
	s_wait_dscnt 0x0
	s_and_not1_b32 s20, s20, exec_lo
	v_cmp_ge_u64_e32 vcc_lo, v[4:5], v[54:55]
	s_or_not1_b32 s24, vcc_lo, exec_lo
	s_branch .LBB4_188
.LBB4_193:                              ;   in Loop: Header=BB4_36 Depth=1
	s_or_b32 exec_lo, exec_lo, s18
	s_and_saveexec_b32 s18, s19
	s_delay_alu instid0(SALU_CYCLE_1)
	s_xor_b32 s18, exec_lo, s18
	s_cbranch_execz .LBB4_195
; %bb.194:                              ;   in Loop: Header=BB4_36 Depth=1
	ds_store_b32 v0, v60
	s_trap 2
.LBB4_195:                              ;   in Loop: Header=BB4_36 Depth=1
	s_or_b32 exec_lo, exec_lo, s17
	;;#ASMSTART
	s_wakeup
	;;#ASMEND
.LBB4_196:                              ;   in Loop: Header=BB4_36 Depth=1
	s_or_b32 exec_lo, exec_lo, s10
.LBB4_197:                              ;   in Loop: Header=BB4_36 Depth=1
	s_and_not1_saveexec_b32 s9, s9
	s_cbranch_execz .LBB4_199
; %bb.198:                              ;   in Loop: Header=BB4_36 Depth=1
	global_wb scope:SCOPE_DEV
	s_wait_storecnt 0x0
	s_wait_loadcnt_dscnt 0x0
	global_inv scope:SCOPE_DEV
	s_barrier_signal -1
	s_barrier_wait -1
.LBB4_199:                              ;   in Loop: Header=BB4_36 Depth=1
	s_or_b32 exec_lo, exec_lo, s9
	s_delay_alu instid0(SALU_CYCLE_1)
	s_or_b32 exec_lo, exec_lo, s8
	s_and_saveexec_b32 s8, s6
	s_cbranch_execz .LBB4_35
.LBB4_200:                              ;   in Loop: Header=BB4_36 Depth=1
	v_add_nc_u64_e32 v[48:49], 1, v[48:49]
	global_wb scope:SCOPE_SYS
	s_wait_storecnt 0x0
	s_wait_loadcnt_dscnt 0x0
	flat_store_b64 v[50:51], v[48:49] scope:SCOPE_SYS
	s_branch .LBB4_35
.LBB4_201:
	s_or_b32 exec_lo, exec_lo, s13
	s_delay_alu instid0(SALU_CYCLE_1)
	s_or_b32 exec_lo, exec_lo, s14
	s_and_saveexec_b32 s1, s11
	s_cbranch_execz .LBB4_20
.LBB4_202:
	s_wait_dscnt 0x0
	flat_store_b64 v[32:33], v[48:49] offset:104
	s_wait_xcnt 0x0
	s_or_b32 exec_lo, exec_lo, s1
	s_and_saveexec_b32 s1, s0
	s_cbranch_execnz .LBB4_21
	s_branch .LBB4_22
.LBB4_203:
	s_or_b32 exec_lo, exec_lo, s4
	s_and_saveexec_b32 s4, s5
	s_delay_alu instid0(SALU_CYCLE_1)
	s_xor_b32 s4, exec_lo, s4
	s_cbranch_execz .LBB4_205
; %bb.204:
	v_mov_b32_e32 v0, 1
	ds_store_b32 v0, v0
	s_trap 2
.LBB4_205:
	s_or_b32 exec_lo, exec_lo, s3
	;;#ASMSTART
	s_wakeup
	;;#ASMEND
.LBB4_206:
	s_or_b32 exec_lo, exec_lo, s2
.LBB4_207:
	s_and_not1_saveexec_b32 s1, s1
	s_cbranch_execz .LBB4_209
; %bb.208:
	global_wb scope:SCOPE_DEV
	s_wait_storecnt 0x0
	s_wait_loadcnt_dscnt 0x0
	global_inv scope:SCOPE_DEV
	s_barrier_signal -1
	s_barrier_wait -1
.LBB4_209:
	s_or_b32 exec_lo, exec_lo, s0
	s_clause 0x11
	scratch_load_b32 v73, off, s32
	scratch_load_b32 v72, off, s32 offset:4
	scratch_load_b32 v63, off, s32 offset:8
	;; [unrolled: 1-line block ×17, first 2 shown]
	s_wait_loadcnt_dscnt 0x0
	s_set_pc_i64 s[30:31]
.Lfunc_end4:
	.size	_ZN12_GLOBAL__N_17runRingId8FuncProdIdE7ProtoLLLi0ELi4ELi0EEEviiP15ncclDevWorkColl, .Lfunc_end4-_ZN12_GLOBAL__N_17runRingId8FuncProdIdE7ProtoLLLi0ELi4ELi0EEEviiP15ncclDevWorkColl
                                        ; -- End function
	.set .L_ZN12_GLOBAL__N_17runRingId8FuncProdIdE7ProtoLLLi0ELi4ELi0EEEviiP15ncclDevWorkColl.num_vgpr, 120
	.set .L_ZN12_GLOBAL__N_17runRingId8FuncProdIdE7ProtoLLLi0ELi4ELi0EEEviiP15ncclDevWorkColl.num_agpr, 0
	.set .L_ZN12_GLOBAL__N_17runRingId8FuncProdIdE7ProtoLLLi0ELi4ELi0EEEviiP15ncclDevWorkColl.numbered_sgpr, 33
	.set .L_ZN12_GLOBAL__N_17runRingId8FuncProdIdE7ProtoLLLi0ELi4ELi0EEEviiP15ncclDevWorkColl.num_named_barrier, 0
	.set .L_ZN12_GLOBAL__N_17runRingId8FuncProdIdE7ProtoLLLi0ELi4ELi0EEEviiP15ncclDevWorkColl.private_seg_size, 76
	.set .L_ZN12_GLOBAL__N_17runRingId8FuncProdIdE7ProtoLLLi0ELi4ELi0EEEviiP15ncclDevWorkColl.uses_vcc, 1
	.set .L_ZN12_GLOBAL__N_17runRingId8FuncProdIdE7ProtoLLLi0ELi4ELi0EEEviiP15ncclDevWorkColl.uses_flat_scratch, 1
	.set .L_ZN12_GLOBAL__N_17runRingId8FuncProdIdE7ProtoLLLi0ELi4ELi0EEEviiP15ncclDevWorkColl.has_dyn_sized_stack, 0
	.set .L_ZN12_GLOBAL__N_17runRingId8FuncProdIdE7ProtoLLLi0ELi4ELi0EEEviiP15ncclDevWorkColl.has_recursion, 0
	.set .L_ZN12_GLOBAL__N_17runRingId8FuncProdIdE7ProtoLLLi0ELi4ELi0EEEviiP15ncclDevWorkColl.has_indirect_call, 0
	.section	.AMDGPU.csdata,"",@progbits
; Function info:
; codeLenInByte = 7652
; TotalNumSgprs: 35
; NumVgprs: 120
; ScratchSize: 76
; MemoryBound: 0
	.text
	.p2align	2                               ; -- Begin function _Z48ncclDevFunc_ReduceScatter_RING_LL_Prod_f64_0_0_4v
	.type	_Z48ncclDevFunc_ReduceScatter_RING_LL_Prod_f64_0_0_4v,@function
_Z48ncclDevFunc_ReduceScatter_RING_LL_Prod_f64_0_0_4v: ; @_Z48ncclDevFunc_ReduceScatter_RING_LL_Prod_f64_0_0_4v
; %bb.0:
	s_wait_loadcnt_dscnt 0x0
	s_wait_kmcnt 0x0
	s_mov_b32 s46, s33
	s_mov_b32 s33, s32
	s_or_saveexec_b32 s0, -1
	scratch_store_b32 off, v41, s33 offset:4 ; 4-byte Folded Spill
	s_wait_xcnt 0x0
	s_mov_b32 exec_lo, s0
	s_add_co_i32 s32, s32, 16
	scratch_store_b32 off, v40, s33         ; 4-byte Folded Spill
	v_writelane_b32 v41, s30, 0
	v_writelane_b32 v41, s31, 1
	s_trap 2
	ds_load_b32 v0, v0
	s_wait_dscnt 0x0
	v_cmp_gt_i32_e32 vcc_lo, 1, v0
	s_cbranch_vccnz .LBB5_8
; %bb.1:
	s_wait_xcnt 0x0
	v_and_b32_e32 v40, 0x3ff, v31
	s_mov_b32 s29, s12
	s_mov_b64 s[40:41], s[8:9]
	s_mov_b32 s44, 0
	s_get_pc_i64 s[42:43]
	s_add_nc_u64 s[42:43], s[42:43], _ZN12_GLOBAL__N_17runRingId8FuncProdIdE7ProtoLLLi0ELi4ELi0EEEviiP15ncclDevWorkColl@rel64+4
	s_branch .LBB5_3
.LBB5_2:                                ;   in Loop: Header=BB5_3 Depth=1
	s_or_b32 exec_lo, exec_lo, s45
	s_trap 2
	ds_load_b32 v0, v0
	s_add_co_i32 s44, s44, 1
	s_wait_dscnt 0x0
	v_cmp_lt_i32_e32 vcc_lo, s44, v0
	s_cbranch_vccz .LBB5_8
.LBB5_3:                                ; =>This Inner Loop Header: Depth=1
	s_trap 2
	ds_load_b32 v0, v0
	s_cmp_eq_u32 s44, 0
	s_cbranch_scc1 .LBB5_6
; %bb.4:                                ;   in Loop: Header=BB5_3 Depth=1
	s_trap 2
	s_wait_dscnt 0x0
	ds_load_b32 v1, v0
	s_wait_dscnt 0x0
	v_xor_b32_e32 v1, v1, v0
	s_delay_alu instid0(VALU_DEP_1) | instskip(NEXT) | instid1(VALU_DEP_1)
	v_and_b32_e32 v1, 0xff0000, v1
	v_cmp_eq_u32_e32 vcc_lo, 0, v1
	s_cbranch_vccnz .LBB5_6
; %bb.5:                                ;   in Loop: Header=BB5_3 Depth=1
	s_wait_storecnt 0x0
	s_barrier_signal -1
	s_barrier_wait -1
	ds_load_b32 v0, v0
.LBB5_6:                                ;   in Loop: Header=BB5_3 Depth=1
	s_wait_dscnt 0x0
	v_lshrrev_b32_e32 v0, 11, v0
	s_mov_b32 s45, exec_lo
	s_delay_alu instid0(VALU_DEP_1) | instskip(NEXT) | instid1(VALU_DEP_1)
	v_and_b32_e32 v1, 0x1fe0, v0
	v_cmpx_lt_u32_e64 v40, v1
	s_cbranch_execz .LBB5_2
; %bb.7:                                ;   in Loop: Header=BB5_3 Depth=1
	s_mov_b64 s[0:1], src_shared_base
	s_delay_alu instid0(SALU_CYCLE_1)
	v_dual_mov_b32 v0, v40 :: v_dual_mov_b32 v3, s1
	s_mov_b64 s[8:9], s[40:41]
	s_mov_b32 s12, s29
	s_swap_pc_i64 s[30:31], s[42:43]
	s_branch .LBB5_2
.LBB5_8:
	scratch_load_b32 v40, off, s33          ; 4-byte Folded Reload
	v_readlane_b32 s30, v41, 0
	v_readlane_b32 s31, v41, 1
	s_mov_b32 s32, s33
	s_wait_xcnt 0x0
	s_or_saveexec_b32 s0, -1
	scratch_load_b32 v41, off, s33 offset:4 ; 4-byte Folded Reload
	s_wait_xcnt 0x0
	s_mov_b32 exec_lo, s0
	s_mov_b32 s33, s46
	s_wait_loadcnt 0x0
	s_set_pc_i64 s[30:31]
.Lfunc_end5:
	.size	_Z48ncclDevFunc_ReduceScatter_RING_LL_Prod_f64_0_0_4v, .Lfunc_end5-_Z48ncclDevFunc_ReduceScatter_RING_LL_Prod_f64_0_0_4v
                                        ; -- End function
	.set .L_Z48ncclDevFunc_ReduceScatter_RING_LL_Prod_f64_0_0_4v.num_vgpr, max(42, .L_ZN12_GLOBAL__N_17runRingId8FuncProdIdE7ProtoLLLi0ELi4ELi0EEEviiP15ncclDevWorkColl.num_vgpr)
	.set .L_Z48ncclDevFunc_ReduceScatter_RING_LL_Prod_f64_0_0_4v.num_agpr, max(0, .L_ZN12_GLOBAL__N_17runRingId8FuncProdIdE7ProtoLLLi0ELi4ELi0EEEviiP15ncclDevWorkColl.num_agpr)
	.set .L_Z48ncclDevFunc_ReduceScatter_RING_LL_Prod_f64_0_0_4v.numbered_sgpr, max(47, .L_ZN12_GLOBAL__N_17runRingId8FuncProdIdE7ProtoLLLi0ELi4ELi0EEEviiP15ncclDevWorkColl.numbered_sgpr)
	.set .L_Z48ncclDevFunc_ReduceScatter_RING_LL_Prod_f64_0_0_4v.num_named_barrier, max(0, .L_ZN12_GLOBAL__N_17runRingId8FuncProdIdE7ProtoLLLi0ELi4ELi0EEEviiP15ncclDevWorkColl.num_named_barrier)
	.set .L_Z48ncclDevFunc_ReduceScatter_RING_LL_Prod_f64_0_0_4v.private_seg_size, 16+max(.L_ZN12_GLOBAL__N_17runRingId8FuncProdIdE7ProtoLLLi0ELi4ELi0EEEviiP15ncclDevWorkColl.private_seg_size)
	.set .L_Z48ncclDevFunc_ReduceScatter_RING_LL_Prod_f64_0_0_4v.uses_vcc, or(1, .L_ZN12_GLOBAL__N_17runRingId8FuncProdIdE7ProtoLLLi0ELi4ELi0EEEviiP15ncclDevWorkColl.uses_vcc)
	.set .L_Z48ncclDevFunc_ReduceScatter_RING_LL_Prod_f64_0_0_4v.uses_flat_scratch, or(0, .L_ZN12_GLOBAL__N_17runRingId8FuncProdIdE7ProtoLLLi0ELi4ELi0EEEviiP15ncclDevWorkColl.uses_flat_scratch)
	.set .L_Z48ncclDevFunc_ReduceScatter_RING_LL_Prod_f64_0_0_4v.has_dyn_sized_stack, or(0, .L_ZN12_GLOBAL__N_17runRingId8FuncProdIdE7ProtoLLLi0ELi4ELi0EEEviiP15ncclDevWorkColl.has_dyn_sized_stack)
	.set .L_Z48ncclDevFunc_ReduceScatter_RING_LL_Prod_f64_0_0_4v.has_recursion, or(1, .L_ZN12_GLOBAL__N_17runRingId8FuncProdIdE7ProtoLLLi0ELi4ELi0EEEviiP15ncclDevWorkColl.has_recursion)
	.set .L_Z48ncclDevFunc_ReduceScatter_RING_LL_Prod_f64_0_0_4v.has_indirect_call, or(0, .L_ZN12_GLOBAL__N_17runRingId8FuncProdIdE7ProtoLLLi0ELi4ELi0EEEviiP15ncclDevWorkColl.has_indirect_call)
	.section	.AMDGPU.csdata,"",@progbits
; Function info:
; codeLenInByte = 396
; TotalNumSgprs: 49
; NumVgprs: 120
; ScratchSize: 92
; MemoryBound: 0
	.text
	.p2alignl 7, 3214868480
	.fill 96, 4, 3214868480
	.section	.AMDGPU.gpr_maximums,"",@progbits
	.set amdgpu.max_num_vgpr, 120
	.set amdgpu.max_num_agpr, 0
	.set amdgpu.max_num_sgpr, 47
	.text
	.type	__hip_cuid_a8b3bcac1afe81bb,@object ; @__hip_cuid_a8b3bcac1afe81bb
	.section	.bss,"aw",@nobits
	.globl	__hip_cuid_a8b3bcac1afe81bb
__hip_cuid_a8b3bcac1afe81bb:
	.byte	0                               ; 0x0
	.size	__hip_cuid_a8b3bcac1afe81bb, 1

	.ident	"AMD clang version 22.0.0git (https://github.com/RadeonOpenCompute/llvm-project roc-7.2.4 26084 f58b06dce1f9c15707c5f808fd002e18c2accf7e)"
	.section	".note.GNU-stack","",@progbits
	.addrsig
	.addrsig_sym _Z48ncclDevFunc_ReduceScatter_RING_LL_Prod_f64_0_0_1v
	.addrsig_sym _Z48ncclDevFunc_ReduceScatter_RING_LL_Prod_f64_0_0_2v
	.addrsig_sym _Z48ncclDevFunc_ReduceScatter_RING_LL_Prod_f64_0_0_4v
	.addrsig_sym ncclShmem
	.addrsig_sym __hip_cuid_a8b3bcac1afe81bb
	.amdgpu_metadata
---
amdhsa.kernels:  []
amdhsa.target:   amdgcn-amd-amdhsa--gfx1250
amdhsa.version:
  - 1
  - 2
...

	.end_amdgpu_metadata
